;; amdgpu-corpus repo=ROCm/rocFFT kind=compiled arch=gfx1100 opt=O3
	.text
	.amdgcn_target "amdgcn-amd-amdhsa--gfx1100"
	.amdhsa_code_object_version 6
	.protected	fft_rtc_fwd_len3645_factors_5_3_3_3_3_3_3_wgs_243_tpt_243_halfLds_dp_op_CI_CI_unitstride_sbrr_dirReg ; -- Begin function fft_rtc_fwd_len3645_factors_5_3_3_3_3_3_3_wgs_243_tpt_243_halfLds_dp_op_CI_CI_unitstride_sbrr_dirReg
	.globl	fft_rtc_fwd_len3645_factors_5_3_3_3_3_3_3_wgs_243_tpt_243_halfLds_dp_op_CI_CI_unitstride_sbrr_dirReg
	.p2align	8
	.type	fft_rtc_fwd_len3645_factors_5_3_3_3_3_3_3_wgs_243_tpt_243_halfLds_dp_op_CI_CI_unitstride_sbrr_dirReg,@function
fft_rtc_fwd_len3645_factors_5_3_3_3_3_3_3_wgs_243_tpt_243_halfLds_dp_op_CI_CI_unitstride_sbrr_dirReg: ; @fft_rtc_fwd_len3645_factors_5_3_3_3_3_3_3_wgs_243_tpt_243_halfLds_dp_op_CI_CI_unitstride_sbrr_dirReg
; %bb.0:
	s_clause 0x2
	s_load_b128 s[8:11], s[0:1], 0x0
	s_load_b128 s[4:7], s[0:1], 0x58
	;; [unrolled: 1-line block ×3, first 2 shown]
	v_mul_u32_u24_e32 v1, 0x10e, v0
	v_mov_b32_e32 v4, 0
	v_mov_b32_e32 v5, 0
	s_delay_alu instid0(VALU_DEP_3) | instskip(NEXT) | instid1(VALU_DEP_1)
	v_lshrrev_b32_e32 v2, 16, v1
	v_dual_mov_b32 v1, 0 :: v_dual_add_nc_u32 v6, s15, v2
	s_delay_alu instid0(VALU_DEP_1) | instskip(SKIP_2) | instid1(VALU_DEP_1)
	v_mov_b32_e32 v7, v1
	s_waitcnt lgkmcnt(0)
	v_cmp_lt_u64_e64 s2, s[10:11], 2
	s_and_b32 vcc_lo, exec_lo, s2
	s_cbranch_vccnz .LBB0_8
; %bb.1:
	s_load_b64 s[2:3], s[0:1], 0x10
	v_mov_b32_e32 v4, 0
	v_mov_b32_e32 v5, 0
	s_add_u32 s12, s18, 8
	s_addc_u32 s13, s19, 0
	s_add_u32 s14, s16, 8
	s_addc_u32 s15, s17, 0
	v_dual_mov_b32 v61, v5 :: v_dual_mov_b32 v60, v4
	s_mov_b64 s[22:23], 1
	s_waitcnt lgkmcnt(0)
	s_add_u32 s20, s2, 8
	s_addc_u32 s21, s3, 0
.LBB0_2:                                ; =>This Inner Loop Header: Depth=1
	s_load_b64 s[24:25], s[20:21], 0x0
                                        ; implicit-def: $vgpr62_vgpr63
	s_mov_b32 s2, exec_lo
	s_waitcnt lgkmcnt(0)
	v_or_b32_e32 v2, s25, v7
	s_delay_alu instid0(VALU_DEP_1)
	v_cmpx_ne_u64_e32 0, v[1:2]
	s_xor_b32 s3, exec_lo, s2
	s_cbranch_execz .LBB0_4
; %bb.3:                                ;   in Loop: Header=BB0_2 Depth=1
	v_cvt_f32_u32_e32 v2, s24
	v_cvt_f32_u32_e32 v3, s25
	s_sub_u32 s2, 0, s24
	s_subb_u32 s26, 0, s25
	s_delay_alu instid0(VALU_DEP_1) | instskip(NEXT) | instid1(VALU_DEP_1)
	v_fmac_f32_e32 v2, 0x4f800000, v3
	v_rcp_f32_e32 v2, v2
	s_waitcnt_depctr 0xfff
	v_mul_f32_e32 v2, 0x5f7ffffc, v2
	s_delay_alu instid0(VALU_DEP_1) | instskip(NEXT) | instid1(VALU_DEP_1)
	v_mul_f32_e32 v3, 0x2f800000, v2
	v_trunc_f32_e32 v3, v3
	s_delay_alu instid0(VALU_DEP_1) | instskip(SKIP_1) | instid1(VALU_DEP_2)
	v_fmac_f32_e32 v2, 0xcf800000, v3
	v_cvt_u32_f32_e32 v3, v3
	v_cvt_u32_f32_e32 v2, v2
	s_delay_alu instid0(VALU_DEP_2) | instskip(NEXT) | instid1(VALU_DEP_2)
	v_mul_lo_u32 v8, s2, v3
	v_mul_hi_u32 v9, s2, v2
	v_mul_lo_u32 v10, s26, v2
	s_delay_alu instid0(VALU_DEP_2) | instskip(SKIP_1) | instid1(VALU_DEP_2)
	v_add_nc_u32_e32 v8, v9, v8
	v_mul_lo_u32 v9, s2, v2
	v_add_nc_u32_e32 v8, v8, v10
	s_delay_alu instid0(VALU_DEP_2) | instskip(NEXT) | instid1(VALU_DEP_2)
	v_mul_hi_u32 v10, v2, v9
	v_mul_lo_u32 v11, v2, v8
	v_mul_hi_u32 v12, v2, v8
	v_mul_hi_u32 v13, v3, v9
	v_mul_lo_u32 v9, v3, v9
	v_mul_hi_u32 v14, v3, v8
	v_mul_lo_u32 v8, v3, v8
	v_add_co_u32 v10, vcc_lo, v10, v11
	v_add_co_ci_u32_e32 v11, vcc_lo, 0, v12, vcc_lo
	s_delay_alu instid0(VALU_DEP_2) | instskip(NEXT) | instid1(VALU_DEP_2)
	v_add_co_u32 v9, vcc_lo, v10, v9
	v_add_co_ci_u32_e32 v9, vcc_lo, v11, v13, vcc_lo
	v_add_co_ci_u32_e32 v10, vcc_lo, 0, v14, vcc_lo
	s_delay_alu instid0(VALU_DEP_2) | instskip(NEXT) | instid1(VALU_DEP_2)
	v_add_co_u32 v8, vcc_lo, v9, v8
	v_add_co_ci_u32_e32 v9, vcc_lo, 0, v10, vcc_lo
	s_delay_alu instid0(VALU_DEP_2) | instskip(NEXT) | instid1(VALU_DEP_2)
	v_add_co_u32 v2, vcc_lo, v2, v8
	v_add_co_ci_u32_e32 v3, vcc_lo, v3, v9, vcc_lo
	s_delay_alu instid0(VALU_DEP_2) | instskip(SKIP_1) | instid1(VALU_DEP_3)
	v_mul_hi_u32 v8, s2, v2
	v_mul_lo_u32 v10, s26, v2
	v_mul_lo_u32 v9, s2, v3
	s_delay_alu instid0(VALU_DEP_1) | instskip(SKIP_1) | instid1(VALU_DEP_2)
	v_add_nc_u32_e32 v8, v8, v9
	v_mul_lo_u32 v9, s2, v2
	v_add_nc_u32_e32 v8, v8, v10
	s_delay_alu instid0(VALU_DEP_2) | instskip(NEXT) | instid1(VALU_DEP_2)
	v_mul_hi_u32 v10, v2, v9
	v_mul_lo_u32 v11, v2, v8
	v_mul_hi_u32 v12, v2, v8
	v_mul_hi_u32 v13, v3, v9
	v_mul_lo_u32 v9, v3, v9
	v_mul_hi_u32 v14, v3, v8
	v_mul_lo_u32 v8, v3, v8
	v_add_co_u32 v10, vcc_lo, v10, v11
	v_add_co_ci_u32_e32 v11, vcc_lo, 0, v12, vcc_lo
	s_delay_alu instid0(VALU_DEP_2) | instskip(NEXT) | instid1(VALU_DEP_2)
	v_add_co_u32 v9, vcc_lo, v10, v9
	v_add_co_ci_u32_e32 v9, vcc_lo, v11, v13, vcc_lo
	v_add_co_ci_u32_e32 v10, vcc_lo, 0, v14, vcc_lo
	s_delay_alu instid0(VALU_DEP_2) | instskip(NEXT) | instid1(VALU_DEP_2)
	v_add_co_u32 v8, vcc_lo, v9, v8
	v_add_co_ci_u32_e32 v9, vcc_lo, 0, v10, vcc_lo
	s_delay_alu instid0(VALU_DEP_2) | instskip(NEXT) | instid1(VALU_DEP_2)
	v_add_co_u32 v10, vcc_lo, v2, v8
	v_add_co_ci_u32_e32 v12, vcc_lo, v3, v9, vcc_lo
	s_delay_alu instid0(VALU_DEP_2) | instskip(SKIP_1) | instid1(VALU_DEP_3)
	v_mul_hi_u32 v13, v6, v10
	v_mad_u64_u32 v[8:9], null, v7, v10, 0
	v_mad_u64_u32 v[2:3], null, v6, v12, 0
	;; [unrolled: 1-line block ×3, first 2 shown]
	s_delay_alu instid0(VALU_DEP_2) | instskip(NEXT) | instid1(VALU_DEP_3)
	v_add_co_u32 v2, vcc_lo, v13, v2
	v_add_co_ci_u32_e32 v3, vcc_lo, 0, v3, vcc_lo
	s_delay_alu instid0(VALU_DEP_2) | instskip(NEXT) | instid1(VALU_DEP_2)
	v_add_co_u32 v2, vcc_lo, v2, v8
	v_add_co_ci_u32_e32 v2, vcc_lo, v3, v9, vcc_lo
	v_add_co_ci_u32_e32 v3, vcc_lo, 0, v11, vcc_lo
	s_delay_alu instid0(VALU_DEP_2) | instskip(NEXT) | instid1(VALU_DEP_2)
	v_add_co_u32 v8, vcc_lo, v2, v10
	v_add_co_ci_u32_e32 v9, vcc_lo, 0, v3, vcc_lo
	s_delay_alu instid0(VALU_DEP_2) | instskip(SKIP_1) | instid1(VALU_DEP_3)
	v_mul_lo_u32 v10, s25, v8
	v_mad_u64_u32 v[2:3], null, s24, v8, 0
	v_mul_lo_u32 v11, s24, v9
	s_delay_alu instid0(VALU_DEP_2) | instskip(NEXT) | instid1(VALU_DEP_2)
	v_sub_co_u32 v2, vcc_lo, v6, v2
	v_add3_u32 v3, v3, v11, v10
	s_delay_alu instid0(VALU_DEP_1) | instskip(NEXT) | instid1(VALU_DEP_1)
	v_sub_nc_u32_e32 v10, v7, v3
	v_subrev_co_ci_u32_e64 v10, s2, s25, v10, vcc_lo
	v_add_co_u32 v11, s2, v8, 2
	s_delay_alu instid0(VALU_DEP_1) | instskip(SKIP_3) | instid1(VALU_DEP_3)
	v_add_co_ci_u32_e64 v12, s2, 0, v9, s2
	v_sub_co_u32 v13, s2, v2, s24
	v_sub_co_ci_u32_e32 v3, vcc_lo, v7, v3, vcc_lo
	v_subrev_co_ci_u32_e64 v10, s2, 0, v10, s2
	v_cmp_le_u32_e32 vcc_lo, s24, v13
	s_delay_alu instid0(VALU_DEP_3) | instskip(SKIP_1) | instid1(VALU_DEP_4)
	v_cmp_eq_u32_e64 s2, s25, v3
	v_cndmask_b32_e64 v13, 0, -1, vcc_lo
	v_cmp_le_u32_e32 vcc_lo, s25, v10
	v_cndmask_b32_e64 v14, 0, -1, vcc_lo
	v_cmp_le_u32_e32 vcc_lo, s24, v2
	;; [unrolled: 2-line block ×3, first 2 shown]
	v_cndmask_b32_e64 v15, 0, -1, vcc_lo
	v_cmp_eq_u32_e32 vcc_lo, s25, v10
	s_delay_alu instid0(VALU_DEP_2) | instskip(SKIP_3) | instid1(VALU_DEP_3)
	v_cndmask_b32_e64 v2, v15, v2, s2
	v_cndmask_b32_e32 v10, v14, v13, vcc_lo
	v_add_co_u32 v13, vcc_lo, v8, 1
	v_add_co_ci_u32_e32 v14, vcc_lo, 0, v9, vcc_lo
	v_cmp_ne_u32_e32 vcc_lo, 0, v10
	s_delay_alu instid0(VALU_DEP_2) | instskip(SKIP_1) | instid1(VALU_DEP_2)
	v_dual_cndmask_b32 v3, v14, v12 :: v_dual_cndmask_b32 v10, v13, v11
	v_cmp_ne_u32_e32 vcc_lo, 0, v2
	v_dual_cndmask_b32 v63, v9, v3 :: v_dual_cndmask_b32 v62, v8, v10
.LBB0_4:                                ;   in Loop: Header=BB0_2 Depth=1
	s_and_not1_saveexec_b32 s2, s3
	s_cbranch_execz .LBB0_6
; %bb.5:                                ;   in Loop: Header=BB0_2 Depth=1
	v_cvt_f32_u32_e32 v2, s24
	s_sub_i32 s3, 0, s24
	v_mov_b32_e32 v63, v1
	s_delay_alu instid0(VALU_DEP_2) | instskip(SKIP_2) | instid1(VALU_DEP_1)
	v_rcp_iflag_f32_e32 v2, v2
	s_waitcnt_depctr 0xfff
	v_mul_f32_e32 v2, 0x4f7ffffe, v2
	v_cvt_u32_f32_e32 v2, v2
	s_delay_alu instid0(VALU_DEP_1) | instskip(NEXT) | instid1(VALU_DEP_1)
	v_mul_lo_u32 v3, s3, v2
	v_mul_hi_u32 v3, v2, v3
	s_delay_alu instid0(VALU_DEP_1) | instskip(NEXT) | instid1(VALU_DEP_1)
	v_add_nc_u32_e32 v2, v2, v3
	v_mul_hi_u32 v2, v6, v2
	s_delay_alu instid0(VALU_DEP_1) | instskip(SKIP_1) | instid1(VALU_DEP_2)
	v_mul_lo_u32 v3, v2, s24
	v_add_nc_u32_e32 v8, 1, v2
	v_sub_nc_u32_e32 v3, v6, v3
	s_delay_alu instid0(VALU_DEP_1) | instskip(SKIP_1) | instid1(VALU_DEP_2)
	v_subrev_nc_u32_e32 v9, s24, v3
	v_cmp_le_u32_e32 vcc_lo, s24, v3
	v_dual_cndmask_b32 v3, v3, v9 :: v_dual_cndmask_b32 v2, v2, v8
	s_delay_alu instid0(VALU_DEP_1) | instskip(NEXT) | instid1(VALU_DEP_2)
	v_cmp_le_u32_e32 vcc_lo, s24, v3
	v_add_nc_u32_e32 v8, 1, v2
	s_delay_alu instid0(VALU_DEP_1)
	v_cndmask_b32_e32 v62, v2, v8, vcc_lo
.LBB0_6:                                ;   in Loop: Header=BB0_2 Depth=1
	s_or_b32 exec_lo, exec_lo, s2
	s_delay_alu instid0(VALU_DEP_1) | instskip(NEXT) | instid1(VALU_DEP_2)
	v_mul_lo_u32 v8, v63, s24
	v_mul_lo_u32 v9, v62, s25
	s_load_b64 s[2:3], s[14:15], 0x0
	v_mad_u64_u32 v[2:3], null, v62, s24, 0
	s_load_b64 s[24:25], s[12:13], 0x0
	s_add_u32 s22, s22, 1
	s_addc_u32 s23, s23, 0
	s_add_u32 s12, s12, 8
	s_addc_u32 s13, s13, 0
	s_add_u32 s14, s14, 8
	s_delay_alu instid0(VALU_DEP_1) | instskip(SKIP_3) | instid1(VALU_DEP_2)
	v_add3_u32 v3, v3, v9, v8
	v_sub_co_u32 v8, vcc_lo, v6, v2
	s_addc_u32 s15, s15, 0
	s_add_u32 s20, s20, 8
	v_sub_co_ci_u32_e32 v6, vcc_lo, v7, v3, vcc_lo
	s_addc_u32 s21, s21, 0
	s_waitcnt lgkmcnt(0)
	s_delay_alu instid0(VALU_DEP_1)
	v_mul_lo_u32 v9, s2, v6
	v_mul_lo_u32 v10, s3, v8
	v_mad_u64_u32 v[2:3], null, s2, v8, v[4:5]
	v_mul_lo_u32 v11, s24, v6
	v_mul_lo_u32 v12, s25, v8
	v_mad_u64_u32 v[6:7], null, s24, v8, v[60:61]
	v_cmp_ge_u64_e64 s2, s[22:23], s[10:11]
	v_add3_u32 v5, v10, v3, v9
	v_mov_b32_e32 v4, v2
	s_delay_alu instid0(VALU_DEP_4)
	v_add3_u32 v61, v12, v7, v11
	v_mov_b32_e32 v60, v6
	s_and_b32 vcc_lo, exec_lo, s2
	s_cbranch_vccnz .LBB0_9
; %bb.7:                                ;   in Loop: Header=BB0_2 Depth=1
	v_dual_mov_b32 v6, v62 :: v_dual_mov_b32 v7, v63
	s_branch .LBB0_2
.LBB0_8:
	v_dual_mov_b32 v61, v5 :: v_dual_mov_b32 v60, v4
	v_dual_mov_b32 v63, v7 :: v_dual_mov_b32 v62, v6
.LBB0_9:
	s_load_b64 s[0:1], s[0:1], 0x28
	v_mul_hi_u32 v1, 0x10db20b, v0
	s_lshl_b64 s[10:11], s[10:11], 3
                                        ; implicit-def: $vgpr64
	s_delay_alu instid0(SALU_CYCLE_1) | instskip(SKIP_4) | instid1(VALU_DEP_1)
	s_add_u32 s2, s18, s10
	s_addc_u32 s3, s19, s11
	s_waitcnt lgkmcnt(0)
	v_cmp_gt_u64_e32 vcc_lo, s[0:1], v[62:63]
	v_cmp_le_u64_e64 s0, s[0:1], v[62:63]
	s_and_saveexec_b32 s1, s0
	s_delay_alu instid0(SALU_CYCLE_1)
	s_xor_b32 s0, exec_lo, s1
; %bb.10:
	v_mul_u32_u24_e32 v1, 0xf3, v1
                                        ; implicit-def: $vgpr4_vgpr5
	s_delay_alu instid0(VALU_DEP_1)
	v_sub_nc_u32_e32 v64, v0, v1
                                        ; implicit-def: $vgpr1
                                        ; implicit-def: $vgpr0
; %bb.11:
	s_or_saveexec_b32 s1, s0
                                        ; implicit-def: $vgpr10_vgpr11
                                        ; implicit-def: $vgpr18_vgpr19
                                        ; implicit-def: $vgpr34_vgpr35
                                        ; implicit-def: $vgpr46_vgpr47
                                        ; implicit-def: $vgpr58_vgpr59
                                        ; implicit-def: $vgpr6_vgpr7
                                        ; implicit-def: $vgpr14_vgpr15
                                        ; implicit-def: $vgpr38_vgpr39
                                        ; implicit-def: $vgpr42_vgpr43
                                        ; implicit-def: $vgpr30_vgpr31
                                        ; implicit-def: $vgpr2_vgpr3
                                        ; implicit-def: $vgpr26_vgpr27
                                        ; implicit-def: $vgpr50_vgpr51
                                        ; implicit-def: $vgpr54_vgpr55
                                        ; implicit-def: $vgpr22_vgpr23
	s_delay_alu instid0(SALU_CYCLE_1)
	s_xor_b32 exec_lo, exec_lo, s1
	s_cbranch_execz .LBB0_13
; %bb.12:
	s_add_u32 s10, s16, s10
	s_addc_u32 s11, s17, s11
	s_load_b64 s[10:11], s[10:11], 0x0
	s_waitcnt lgkmcnt(0)
	v_mul_lo_u32 v6, s11, v62
	v_mul_lo_u32 v7, s10, v63
	v_mad_u64_u32 v[2:3], null, s10, v62, 0
	s_delay_alu instid0(VALU_DEP_1) | instskip(SKIP_1) | instid1(VALU_DEP_2)
	v_add3_u32 v3, v3, v7, v6
	v_mul_u32_u24_e32 v6, 0xf3, v1
	v_lshlrev_b64 v[1:2], 4, v[2:3]
	v_lshlrev_b64 v[3:4], 4, v[4:5]
	s_delay_alu instid0(VALU_DEP_3) | instskip(NEXT) | instid1(VALU_DEP_3)
	v_sub_nc_u32_e32 v64, v0, v6
	v_add_co_u32 v0, s0, s4, v1
	s_delay_alu instid0(VALU_DEP_1) | instskip(NEXT) | instid1(VALU_DEP_3)
	v_add_co_ci_u32_e64 v1, s0, s5, v2, s0
	v_lshlrev_b32_e32 v2, 4, v64
	s_delay_alu instid0(VALU_DEP_3) | instskip(NEXT) | instid1(VALU_DEP_1)
	v_add_co_u32 v0, s0, v0, v3
	v_add_co_ci_u32_e64 v1, s0, v1, v4, s0
	s_delay_alu instid0(VALU_DEP_2) | instskip(NEXT) | instid1(VALU_DEP_1)
	v_add_co_u32 v8, s0, v0, v2
	v_add_co_ci_u32_e64 v9, s0, 0, v1, s0
	s_clause 0x1
	global_load_b128 v[20:23], v[8:9], off
	global_load_b128 v[28:31], v[8:9], off offset:3888
	v_add_co_u32 v0, s0, 0x2000, v8
	s_delay_alu instid0(VALU_DEP_1) | instskip(SKIP_1) | instid1(VALU_DEP_1)
	v_add_co_ci_u32_e64 v1, s0, 0, v9, s0
	v_add_co_u32 v2, s0, 0x5000, v8
	v_add_co_ci_u32_e64 v3, s0, 0, v9, s0
	v_add_co_u32 v4, s0, 0x8000, v8
	s_delay_alu instid0(VALU_DEP_1) | instskip(SKIP_1) | instid1(VALU_DEP_1)
	v_add_co_ci_u32_e64 v5, s0, 0, v9, s0
	v_add_co_u32 v6, s0, 0xb000, v8
	v_add_co_ci_u32_e64 v7, s0, 0, v9, s0
	;; [unrolled: 5-line block ×4, first 2 shown]
	s_clause 0x7
	global_load_b128 v[52:55], v[0:1], off offset:3472
	global_load_b128 v[48:51], v[2:3], off offset:2848
	;; [unrolled: 1-line block ×8, first 2 shown]
	v_add_co_u32 v10, s0, 0x1000, v8
	s_delay_alu instid0(VALU_DEP_1) | instskip(SKIP_1) | instid1(VALU_DEP_1)
	v_add_co_ci_u32_e64 v11, s0, 0, v9, s0
	v_add_co_u32 v16, s0, 0x4000, v8
	v_add_co_ci_u32_e64 v17, s0, 0, v9, s0
	v_add_co_u32 v18, s0, 0x7000, v8
	s_delay_alu instid0(VALU_DEP_1) | instskip(SKIP_1) | instid1(VALU_DEP_1)
	v_add_co_ci_u32_e64 v19, s0, 0, v9, s0
	v_add_co_u32 v65, s0, 0xa000, v8
	v_add_co_ci_u32_e64 v66, s0, 0, v9, s0
	v_add_co_u32 v8, s0, 0xd000, v8
	s_delay_alu instid0(VALU_DEP_1)
	v_add_co_ci_u32_e64 v9, s0, 0, v9, s0
	s_clause 0x4
	global_load_b128 v[56:59], v[10:11], off offset:3680
	global_load_b128 v[44:47], v[16:17], off offset:3056
	;; [unrolled: 1-line block ×5, first 2 shown]
.LBB0_13:
	s_or_b32 exec_lo, exec_lo, s1
	s_waitcnt vmcnt(12)
	v_add_f64 v[67:68], v[54:55], v[22:23]
	v_add_f64 v[65:66], v[52:53], v[20:21]
	s_waitcnt vmcnt(10)
	v_add_f64 v[69:70], v[24:25], v[48:49]
	s_waitcnt vmcnt(6)
	;; [unrolled: 2-line block ×3, first 2 shown]
	v_add_f64 v[79:80], v[4:5], v[40:41]
	v_add_f64 v[81:82], v[14:15], v[38:39]
	v_add_f64 v[85:86], v[40:41], v[28:29]
	v_add_f64 v[71:72], v[0:1], v[52:53]
	v_add_f64 v[99:100], v[52:53], -v[48:49]
	v_add_f64 v[105:106], v[0:1], -v[24:25]
	v_add_f64 v[73:74], v[26:27], v[50:51]
	v_add_f64 v[101:102], v[48:49], -v[52:53]
	v_add_f64 v[107:108], v[24:25], -v[0:1]
	v_add_f64 v[75:76], v[2:3], v[54:55]
	v_add_f64 v[83:84], v[6:7], v[42:43]
	;; [unrolled: 1-line block ×3, first 2 shown]
	v_add_f64 v[89:90], v[54:55], -v[2:3]
	s_waitcnt vmcnt(1)
	v_add_f64 v[91:92], v[16:17], v[32:33]
	s_waitcnt vmcnt(0)
	v_add_f64 v[93:94], v[8:9], v[44:45]
	v_add_f64 v[95:96], v[18:19], v[34:35]
	v_add_f64 v[103:104], v[54:55], -v[50:51]
	v_add_f64 v[54:55], v[50:51], -v[54:55]
	;; [unrolled: 1-line block ×7, first 2 shown]
	s_mov_b32 s0, 0x134454ff
	s_mov_b32 s1, 0x3fee6f0e
	;; [unrolled: 1-line block ×4, first 2 shown]
	v_add_f64 v[97:98], v[10:11], v[46:47]
	v_add_f64 v[52:53], v[52:53], -v[0:1]
	s_mov_b32 s10, 0x4755a5e
	s_mov_b32 s11, 0x3fe2cf23
	s_mov_b32 s13, 0xbfe2cf23
	s_mov_b32 s12, s10
	v_add_f64 v[40:41], v[40:41], -v[4:5]
	v_add_f64 v[67:68], v[50:51], v[67:68]
	v_add_f64 v[65:66], v[48:49], v[65:66]
	v_add_f64 v[50:51], v[50:51], -v[26:27]
	v_fma_f64 v[69:70], v[69:70], -0.5, v[20:21]
	v_fma_f64 v[77:78], v[77:78], -0.5, v[28:29]
	;; [unrolled: 1-line block ×4, first 2 shown]
	v_add_f64 v[81:82], v[36:37], -v[12:13]
	v_add_f64 v[36:37], v[36:37], v[85:86]
	v_add_f64 v[85:86], v[46:47], v[58:59]
	v_fma_f64 v[20:21], v[71:72], -0.5, v[20:21]
	v_add_f64 v[99:100], v[105:106], v[99:100]
	v_add_f64 v[105:106], v[12:13], -v[4:5]
	v_fma_f64 v[71:72], v[73:74], -0.5, v[22:23]
	v_add_f64 v[73:74], v[42:43], -v[38:39]
	v_add_f64 v[101:102], v[107:108], v[101:102]
	v_add_f64 v[107:108], v[6:7], -v[14:15]
	v_add_f64 v[48:49], v[48:49], -v[24:25]
	v_fma_f64 v[22:23], v[75:76], -0.5, v[22:23]
	v_add_f64 v[42:43], v[38:39], -v[42:43]
	v_add_f64 v[75:76], v[38:39], -v[14:15]
	v_fma_f64 v[30:31], v[83:84], -0.5, v[30:31]
	v_add_f64 v[83:84], v[44:45], v[56:57]
	v_add_f64 v[38:39], v[38:39], v[87:88]
	v_add_f64 v[87:88], v[44:45], -v[32:33]
	v_fma_f64 v[91:92], v[91:92], -0.5, v[56:57]
	v_fma_f64 v[56:57], v[93:94], -0.5, v[56:57]
	;; [unrolled: 1-line block ×3, first 2 shown]
	v_add_f64 v[95:96], v[46:47], -v[10:11]
	v_add_f64 v[103:104], v[109:110], v[103:104]
	v_add_f64 v[109:110], v[14:15], -v[6:7]
	v_add_f64 v[54:55], v[111:112], v[54:55]
	v_add_f64 v[111:112], v[8:9], -v[16:17]
	v_fma_f64 v[58:59], v[97:98], -0.5, v[58:59]
	v_add_f64 v[97:98], v[32:33], -v[44:45]
	v_add_f64 v[44:45], v[44:45], -v[8:9]
	s_load_b64 s[2:3], s[2:3], 0x0
	v_add_f64 v[26:27], v[26:27], v[67:68]
	v_add_f64 v[67:68], v[4:5], -v[12:13]
	v_add_f64 v[24:25], v[24:25], v[65:66]
	v_add_f64 v[65:66], v[46:47], -v[34:35]
	v_add_f64 v[46:47], v[34:35], -v[46:47]
	v_add_f64 v[12:13], v[12:13], v[36:37]
	v_add_f64 v[85:86], v[34:35], v[85:86]
	v_add_f64 v[34:35], v[34:35], -v[18:19]
	v_add_f64 v[105:106], v[105:106], v[117:118]
	v_fma_f64 v[117:118], v[50:51], s[4:5], v[20:21]
	v_fma_f64 v[20:21], v[50:51], s[0:1], v[20:21]
	v_add_f64 v[73:74], v[107:108], v[73:74]
	v_fma_f64 v[107:108], v[113:114], s[0:1], v[77:78]
	v_fma_f64 v[77:78], v[113:114], s[4:5], v[77:78]
	v_fma_f64 v[36:37], v[75:76], s[4:5], v[28:29]
	v_fma_f64 v[28:29], v[75:76], s[0:1], v[28:29]
	v_add_f64 v[83:84], v[32:33], v[83:84]
	v_add_f64 v[32:33], v[32:33], -v[16:17]
	v_add_f64 v[14:15], v[14:15], v[38:39]
	v_fma_f64 v[38:39], v[95:96], s[0:1], v[91:92]
	v_fma_f64 v[91:92], v[95:96], s[4:5], v[91:92]
	v_add_f64 v[42:43], v[109:110], v[42:43]
	v_add_f64 v[109:110], v[16:17], -v[8:9]
	v_add_f64 v[87:88], v[111:112], v[87:88]
	v_add_f64 v[67:68], v[67:68], v[115:116]
	v_fma_f64 v[115:116], v[89:90], s[0:1], v[69:70]
	v_fma_f64 v[69:70], v[89:90], s[4:5], v[69:70]
	v_add_f64 v[0:1], v[0:1], v[24:25]
	v_add_f64 v[4:5], v[4:5], v[12:13]
	v_fma_f64 v[111:112], v[34:35], s[4:5], v[56:57]
	v_fma_f64 v[56:57], v[34:35], s[0:1], v[56:57]
	v_fma_f64 v[117:118], v[89:90], s[10:11], v[117:118]
	v_fma_f64 v[20:21], v[89:90], s[12:13], v[20:21]
	v_fma_f64 v[89:90], v[52:53], s[4:5], v[71:72]
	v_fma_f64 v[71:72], v[52:53], s[0:1], v[71:72]
	v_fma_f64 v[107:108], v[75:76], s[10:11], v[107:108]
	v_fma_f64 v[75:76], v[75:76], s[12:13], v[77:78]
	v_fma_f64 v[77:78], v[48:49], s[0:1], v[22:23]
	v_fma_f64 v[22:23], v[48:49], s[4:5], v[22:23]
	v_fma_f64 v[36:37], v[113:114], s[10:11], v[36:37]
	v_fma_f64 v[28:29], v[113:114], s[12:13], v[28:29]
	v_add_f64 v[113:114], v[18:19], -v[10:11]
	v_add_f64 v[16:17], v[16:17], v[83:84]
	v_fma_f64 v[38:39], v[34:35], s[10:11], v[38:39]
	v_fma_f64 v[34:35], v[34:35], s[12:13], v[91:92]
	;; [unrolled: 1-line block ×4, first 2 shown]
	v_add_f64 v[97:98], v[109:110], v[97:98]
	v_fma_f64 v[109:110], v[81:82], s[0:1], v[30:31]
	v_fma_f64 v[30:31], v[81:82], s[4:5], v[30:31]
	;; [unrolled: 1-line block ×4, first 2 shown]
	v_add_f64 v[69:70], v[10:11], -v[18:19]
	v_add_f64 v[18:19], v[18:19], v[85:86]
	v_fma_f64 v[111:112], v[95:96], s[10:11], v[111:112]
	v_fma_f64 v[56:57], v[95:96], s[12:13], v[56:57]
	;; [unrolled: 1-line block ×6, first 2 shown]
	v_mad_u32_u24 v89, v64, 40, 0
	v_fma_f64 v[71:72], v[52:53], s[12:13], v[77:78]
	v_fma_f64 v[22:23], v[52:53], s[10:11], v[22:23]
	s_delay_alu instid0(VALU_DEP_3)
	v_add_nc_u32_e32 v90, 0x25f8, v89
	v_add_f64 v[46:47], v[113:114], v[46:47]
	v_add_f64 v[8:9], v[8:9], v[16:17]
	v_fma_f64 v[52:53], v[81:82], s[12:13], v[91:92]
	v_fma_f64 v[77:78], v[81:82], s[10:11], v[79:80]
	v_add_nc_u32_e32 v91, 0x2608, v89
	v_fma_f64 v[79:80], v[40:41], s[12:13], v[109:110]
	v_fma_f64 v[30:31], v[40:41], s[10:11], v[30:31]
	v_add_nc_u32_e32 v92, 0x4bf0, v89
	v_add_f64 v[65:66], v[69:70], v[65:66]
	v_fma_f64 v[69:70], v[44:45], s[4:5], v[93:94]
	v_fma_f64 v[93:94], v[44:45], s[0:1], v[93:94]
	s_mov_b32 s0, 0x372fe950
	s_mov_b32 s1, 0x3fd3c6ef
	;; [unrolled: 1-line block ×3, first 2 shown]
	v_fma_f64 v[85:86], v[99:100], s[0:1], v[115:116]
	v_fma_f64 v[20:21], v[101:102], s[0:1], v[20:21]
	;; [unrolled: 1-line block ×9, first 2 shown]
	v_add_f64 v[56:57], v[2:3], v[26:27]
	v_fma_f64 v[83:84], v[103:104], s[0:1], v[83:84]
	v_fma_f64 v[50:51], v[67:68], s[0:1], v[75:76]
	;; [unrolled: 1-line block ×5, first 2 shown]
	v_add_f64 v[75:76], v[6:7], v[14:15]
	v_and_b32_e32 v14, 0xff, v64
	v_fma_f64 v[48:49], v[103:104], s[0:1], v[48:49]
	v_lshlrev_b32_e32 v67, 5, v64
	v_add_f64 v[87:88], v[10:11], v[18:19]
	v_fma_f64 v[52:53], v[73:74], s[0:1], v[52:53]
	v_fma_f64 v[54:55], v[73:74], s[0:1], v[77:78]
	s_mov_b32 s5, 0x3febb67a
	v_fma_f64 v[73:74], v[42:43], s[0:1], v[79:80]
	v_fma_f64 v[42:43], v[42:43], s[0:1], v[30:31]
	;; [unrolled: 1-line block ×7, first 2 shown]
	v_add_nc_u32_e32 v93, 0x4c00, v89
	s_mov_b32 s11, 0xbfebb67a
	s_mov_b32 s10, s4
	ds_store_2addr_b64 v89, v[0:1], v[85:86] offset1:1
	ds_store_2addr_b64 v89, v[58:59], v[20:21] offset0:2 offset1:3
	ds_store_2addr_b64 v90, v[4:5], v[24:25] offset1:1
	ds_store_2addr_b64 v91, v[36:37], v[28:29] offset1:1
	;; [unrolled: 1-line block ×4, first 2 shown]
	v_fma_f64 v[79:80], v[46:47], s[0:1], v[69:70]
	v_mul_lo_u16 v8, 0xcd, v14
	v_add_nc_u32_e32 v70, 0xf3, v64
	v_fma_f64 v[40:41], v[65:66], s[0:1], v[40:41]
	v_fma_f64 v[77:78], v[65:66], s[0:1], v[32:33]
	;; [unrolled: 1-line block ×3, first 2 shown]
	v_lshrrev_b16 v16, 10, v8
	v_and_b32_e32 v13, 0xffff, v70
	v_sub_nc_u32_e32 v58, v89, v67
	ds_store_b64 v89, v[38:39] offset:32
	ds_store_b64 v89, v[50:51] offset:9752
	;; [unrolled: 1-line block ×3, first 2 shown]
	s_waitcnt lgkmcnt(0)
	v_mul_lo_u16 v12, v16, 5
	v_mul_u32_u24_e32 v15, 0xcccd, v13
	v_add_nc_u32_e32 v66, 0x1e00, v58
	v_add_nc_u32_e32 v67, 0x2d80, v58
	;; [unrolled: 1-line block ×3, first 2 shown]
	v_sub_nc_u16 v12, v64, v12
	v_lshrrev_b32_e32 v19, 18, v15
	v_add_nc_u32_e32 v69, 0x5b00, v58
	v_add_nc_u32_e32 v65, 0x4bc0, v58
	v_add_nc_u32_e32 v68, 0x3c80, v58
	v_and_b32_e32 v18, 0xff, v12
	v_mul_lo_u16 v12, v19, 5
	s_barrier
	buffer_gl0_inv
	ds_load_2addr_b64 v[4:7], v58 offset1:243
	ds_load_2addr_b64 v[0:3], v66 offset0:12 offset1:255
	ds_load_2addr_b64 v[24:27], v65 offset0:6 offset1:249
	;; [unrolled: 1-line block ×6, first 2 shown]
	ds_load_b64 v[108:109], v58 offset:27216
	s_waitcnt lgkmcnt(0)
	s_barrier
	buffer_gl0_inv
	ds_store_2addr_b64 v89, v[56:57], v[83:84] offset1:1
	ds_store_2addr_b64 v89, v[71:72], v[22:23] offset0:2 offset1:3
	v_sub_nc_u16 v12, v70, v12
	v_add_nc_u32_e32 v71, 0x1e6, v64
	v_lshlrev_b32_e32 v15, 5, v18
	ds_store_2addr_b64 v90, v[75:76], v[52:53] offset1:1
	ds_store_2addr_b64 v91, v[73:74], v[42:43] offset1:1
	;; [unrolled: 1-line block ×4, first 2 shown]
	v_and_b32_e32 v17, 0xffff, v12
	v_and_b32_e32 v12, 0xffff, v71
	ds_store_b64 v89, v[48:49] offset:32
	ds_store_b64 v89, v[54:55] offset:9752
	;; [unrolled: 1-line block ×3, first 2 shown]
	s_waitcnt lgkmcnt(0)
	s_barrier
	v_lshlrev_b32_e32 v22, 5, v17
	v_mul_u32_u24_e32 v20, 0xcccd, v12
	buffer_gl0_inv
	s_clause 0x3
	global_load_b128 v[40:43], v15, s[8:9] offset:16
	global_load_b128 v[76:79], v15, s[8:9]
	global_load_b128 v[44:47], v22, s[8:9] offset:16
	global_load_b128 v[48:51], v22, s[8:9]
	v_lshrrev_b32_e32 v21, 18, v20
	v_add_nc_u32_e32 v72, 0x2d9, v64
	v_add_nc_u32_e32 v73, 0x3cc, v64
	v_lshlrev_b32_e32 v18, 3, v18
	v_lshlrev_b32_e32 v17, 3, v17
	v_mul_lo_u16 v20, v21, 5
	v_and_b32_e32 v75, 0xffff, v72
	v_and_b32_e32 v74, 0xffff, v73
	v_cmp_gt_u32_e64 s0, 0x87, v64
	s_delay_alu instid0(VALU_DEP_4) | instskip(NEXT) | instid1(VALU_DEP_4)
	v_sub_nc_u16 v20, v71, v20
	v_mul_u32_u24_e32 v22, 0xcccd, v75
	s_delay_alu instid0(VALU_DEP_4) | instskip(NEXT) | instid1(VALU_DEP_3)
	v_mul_u32_u24_e32 v57, 0xcccd, v74
	v_and_b32_e32 v20, 0xffff, v20
	s_delay_alu instid0(VALU_DEP_3) | instskip(NEXT) | instid1(VALU_DEP_3)
	v_lshrrev_b32_e32 v22, 18, v22
	v_lshrrev_b32_e32 v116, 18, v57
	s_delay_alu instid0(VALU_DEP_3) | instskip(NEXT) | instid1(VALU_DEP_3)
	v_lshlrev_b32_e32 v56, 5, v20
	v_mul_lo_u16 v23, v22, 5
	v_mul_u32_u24_e32 v118, 0x78, v22
	v_lshlrev_b32_e32 v20, 3, v20
	global_load_b128 v[52:55], v56, s[8:9]
	v_sub_nc_u16 v23, v72, v23
	s_delay_alu instid0(VALU_DEP_1) | instskip(NEXT) | instid1(VALU_DEP_1)
	v_and_b32_e32 v23, 0xffff, v23
	v_lshlrev_b32_e32 v15, 5, v23
	s_clause 0x1
	global_load_b128 v[80:83], v56, s[8:9] offset:16
	global_load_b128 v[84:87], v15, s[8:9] offset:16
	v_mul_lo_u16 v56, v116, 5
	v_mul_u32_u24_e32 v116, 0x78, v116
	v_lshlrev_b32_e32 v23, 3, v23
	s_delay_alu instid0(VALU_DEP_3) | instskip(NEXT) | instid1(VALU_DEP_1)
	v_sub_nc_u16 v56, v73, v56
	v_and_b32_e32 v117, 0xffff, v56
	s_delay_alu instid0(VALU_DEP_1)
	v_lshlrev_b32_e32 v56, 5, v117
	s_clause 0x2
	global_load_b128 v[88:91], v15, s[8:9]
	global_load_b128 v[92:95], v56, s[8:9]
	global_load_b128 v[96:99], v56, s[8:9] offset:16
	ds_load_2addr_b64 v[100:103], v65 offset0:6 offset1:249
	ds_load_2addr_b64 v[104:107], v67 offset0:2 offset1:245
	v_mul_lo_u16 v15, 0x89, v14
	v_mul_lo_u16 v14, 0x6d, v14
	s_delay_alu instid0(VALU_DEP_2)
	v_lshrrev_b16 v15, 11, v15
	s_waitcnt vmcnt(9) lgkmcnt(1)
	v_mul_f64 v[56:57], v[100:101], v[42:43]
	v_mul_f64 v[42:43], v[24:25], v[42:43]
	s_waitcnt vmcnt(7)
	v_mul_f64 v[110:111], v[102:103], v[46:47]
	v_mul_f64 v[46:47], v[26:27], v[46:47]
	s_waitcnt vmcnt(6) lgkmcnt(0)
	v_mul_f64 v[112:113], v[104:105], v[50:51]
	v_mul_f64 v[50:51], v[28:29], v[50:51]
	s_waitcnt vmcnt(5)
	v_mul_f64 v[114:115], v[106:107], v[54:55]
	v_mul_f64 v[54:55], v[30:31], v[54:55]
	v_fma_f64 v[56:57], v[24:25], v[40:41], -v[56:57]
	v_fma_f64 v[100:101], v[100:101], v[40:41], v[42:43]
	v_fma_f64 v[110:111], v[26:27], v[44:45], -v[110:111]
	ds_load_2addr_b64 v[24:27], v66 offset0:12 offset1:255
	ds_load_2addr_b64 v[40:43], v69 offset0:4 offset1:247
	v_fma_f64 v[44:45], v[102:103], v[44:45], v[46:47]
	v_fma_f64 v[102:103], v[28:29], v[48:49], -v[112:113]
	v_fma_f64 v[48:49], v[104:105], v[48:49], v[50:51]
	v_mul_f64 v[50:51], v[2:3], v[78:79]
	s_waitcnt lgkmcnt(1)
	v_mul_f64 v[46:47], v[26:27], v[78:79]
	s_waitcnt vmcnt(4) lgkmcnt(0)
	v_mul_f64 v[104:105], v[40:41], v[82:83]
	v_fma_f64 v[78:79], v[30:31], v[52:53], -v[114:115]
	ds_load_2addr_b64 v[28:31], v68 offset0:8 offset1:251
	v_fma_f64 v[52:53], v[106:107], v[52:53], v[54:55]
	s_waitcnt vmcnt(3)
	v_mul_f64 v[54:55], v[42:43], v[86:87]
	ds_load_b64 v[106:107], v58 offset:27216
	s_waitcnt vmcnt(1) lgkmcnt(1)
	v_mul_f64 v[114:115], v[30:31], v[94:95]
	v_mul_f64 v[112:113], v[28:29], v[90:91]
	v_fma_f64 v[2:3], v[2:3], v[76:77], -v[46:47]
	v_fma_f64 v[46:47], v[26:27], v[76:77], v[50:51]
	s_waitcnt vmcnt(0) lgkmcnt(0)
	v_mul_f64 v[26:27], v[106:107], v[98:99]
	v_mul_f64 v[50:51], v[32:33], v[82:83]
	v_fma_f64 v[76:77], v[32:33], v[80:81], -v[104:105]
	v_mul_f64 v[32:33], v[34:35], v[86:87]
	v_mul_f64 v[86:87], v[108:109], v[98:99]
	v_fma_f64 v[54:55], v[34:35], v[84:85], -v[54:55]
	v_mul_f64 v[34:35], v[36:37], v[90:91]
	v_fma_f64 v[82:83], v[38:39], v[92:93], -v[114:115]
	;; [unrolled: 2-line block ×3, first 2 shown]
	v_add_f64 v[94:95], v[48:49], v[44:45]
	v_fma_f64 v[90:91], v[108:109], v[96:97], -v[26:27]
	v_fma_f64 v[40:41], v[40:41], v[80:81], v[50:51]
	v_add_f64 v[80:81], v[102:103], v[110:111]
	v_fma_f64 v[42:43], v[42:43], v[84:85], v[32:33]
	v_fma_f64 v[84:85], v[106:107], v[96:97], v[86:87]
	v_add_f64 v[50:51], v[2:3], v[56:57]
	v_add_f64 v[86:87], v[78:79], v[76:77]
	v_add_f64 v[108:109], v[6:7], v[102:103]
	v_add_f64 v[106:107], v[4:5], v[2:3]
	v_fma_f64 v[34:35], v[28:29], v[88:89], v[34:35]
	ds_load_2addr_b64 v[26:29], v58 offset1:243
	v_add_f64 v[2:3], v[2:3], -v[56:57]
	v_fma_f64 v[38:39], v[30:31], v[92:93], v[38:39]
	v_add_f64 v[88:89], v[36:37], v[54:55]
	v_add_f64 v[92:93], v[46:47], v[100:101]
	ds_load_2addr_b64 v[30:33], v59 offset0:6 offset1:249
	s_waitcnt lgkmcnt(1)
	v_add_f64 v[112:113], v[26:27], v[46:47]
	v_add_f64 v[46:47], v[46:47], -v[100:101]
	s_waitcnt lgkmcnt(0)
	s_barrier
	buffer_gl0_inv
	v_add_f64 v[96:97], v[82:83], v[90:91]
	v_add_f64 v[98:99], v[52:53], v[40:41]
	v_fma_f64 v[6:7], v[80:81], -0.5, v[6:7]
	v_fma_f64 v[4:5], v[50:51], -0.5, v[4:5]
	v_add_f64 v[50:51], v[8:9], v[78:79]
	v_fma_f64 v[8:9], v[86:87], -0.5, v[8:9]
	v_add_f64 v[78:79], v[78:79], -v[76:77]
	v_add_f64 v[104:105], v[34:35], v[42:43]
	v_add_f64 v[56:57], v[106:107], v[56:57]
	;; [unrolled: 1-line block ×3, first 2 shown]
	v_fma_f64 v[86:87], v[88:89], -0.5, v[10:11]
	v_add_f64 v[10:11], v[10:11], v[36:37]
	v_add_f64 v[88:89], v[0:1], v[82:83]
	v_fma_f64 v[26:27], v[92:93], -0.5, v[26:27]
	v_fma_f64 v[92:93], v[94:95], -0.5, v[28:29]
	v_add_f64 v[94:95], v[30:31], v[52:53]
	v_add_f64 v[28:29], v[28:29], v[48:49]
	v_add_f64 v[48:49], v[48:49], -v[44:45]
	v_add_f64 v[52:53], v[52:53], -v[40:41]
	;; [unrolled: 1-line block ×3, first 2 shown]
	v_fma_f64 v[0:1], v[96:97], -0.5, v[0:1]
	v_add_f64 v[96:97], v[34:35], -v[42:43]
	v_add_f64 v[34:35], v[32:33], v[34:35]
	v_fma_f64 v[30:31], v[98:99], -0.5, v[30:31]
	v_add_f64 v[36:37], v[36:37], -v[54:55]
	v_add_f64 v[82:83], v[82:83], -v[90:91]
	v_mul_u32_u24_e32 v98, 0x8889, v13
	v_and_b32_e32 v99, 0xffff, v16
	v_add_f64 v[50:51], v[50:51], v[76:77]
	v_fma_f64 v[32:33], v[104:105], -0.5, v[32:33]
	v_mul_u32_u24_e32 v105, 0x78, v21
	v_add_f64 v[21:22], v[24:25], v[38:39]
	v_add_f64 v[38:39], v[102:103], -v[110:111]
	v_lshrrev_b32_e32 v16, 19, v98
	v_mul_u32_u24_e32 v98, 0x78, v99
	v_mul_u32_u24_e32 v99, 0x78, v19
	v_fma_f64 v[76:77], v[46:47], s[4:5], v[4:5]
	v_fma_f64 v[4:5], v[46:47], s[10:11], v[4:5]
	v_mul_lo_u16 v104, v15, 15
	v_add3_u32 v107, 0, v98, v18
	v_add3_u32 v20, 0, v105, v20
	v_mul_lo_u16 v119, v16, 15
	v_and_b32_e32 v15, 0xffff, v15
	v_sub_nc_u16 v19, v64, v104
	v_lshlrev_b32_e32 v104, 3, v117
	v_fma_f64 v[24:25], v[80:81], -0.5, v[24:25]
	v_add_f64 v[80:81], v[108:109], v[110:111]
	v_add_f64 v[10:11], v[10:11], v[54:55]
	;; [unrolled: 1-line block ×3, first 2 shown]
	v_add3_u32 v108, 0, v99, v17
	v_add_f64 v[17:18], v[112:113], v[100:101]
	v_fma_f64 v[90:91], v[2:3], s[10:11], v[26:27]
	v_add_f64 v[40:41], v[94:95], v[40:41]
	v_fma_f64 v[94:95], v[2:3], s[4:5], v[26:27]
	v_fma_f64 v[46:47], v[48:49], s[4:5], v[6:7]
	;; [unrolled: 1-line block ×7, first 2 shown]
	v_add_f64 v[44:45], v[28:29], v[44:45]
	v_add_f64 v[42:43], v[34:35], v[42:43]
	v_fma_f64 v[88:89], v[114:115], s[4:5], v[0:1]
	v_fma_f64 v[0:1], v[114:115], s[10:11], v[0:1]
	v_and_b32_e32 v19, 0xff, v19
	v_fma_f64 v[98:99], v[36:37], s[10:11], v[32:33]
	v_fma_f64 v[100:101], v[36:37], s[4:5], v[32:33]
	v_add_f64 v[84:85], v[21:22], v[84:85]
	v_fma_f64 v[96:97], v[38:39], s[10:11], v[92:93]
	v_fma_f64 v[38:39], v[38:39], s[4:5], v[92:93]
	;; [unrolled: 1-line block ×4, first 2 shown]
	v_lshlrev_b32_e32 v106, 5, v19
	v_add3_u32 v37, 0, v116, v104
	v_add3_u32 v109, 0, v118, v23
	ds_store_2addr_b64 v107, v[56:57], v[76:77] offset1:5
	ds_store_b64 v107, v[4:5] offset:80
	ds_store_2addr_b64 v108, v[80:81], v[46:47] offset1:5
	ds_store_b64 v108, v[6:7] offset:80
	;; [unrolled: 2-line block ×5, first 2 shown]
	v_fma_f64 v[102:103], v[82:83], s[10:11], v[24:25]
	v_fma_f64 v[82:83], v[82:83], s[4:5], v[24:25]
	s_waitcnt lgkmcnt(0)
	s_barrier
	buffer_gl0_inv
	ds_load_2addr_b64 v[8:11], v58 offset1:243
	ds_load_2addr_b64 v[0:3], v66 offset0:12 offset1:255
	ds_load_2addr_b64 v[21:24], v65 offset0:6 offset1:249
	;; [unrolled: 1-line block ×6, first 2 shown]
	ds_load_b64 v[104:105], v58 offset:27216
	s_waitcnt lgkmcnt(0)
	s_barrier
	buffer_gl0_inv
	ds_store_2addr_b64 v107, v[17:18], v[90:91] offset1:5
	ds_store_b64 v107, v[94:95] offset:80
	ds_store_2addr_b64 v108, v[44:45], v[96:97] offset1:5
	ds_store_b64 v108, v[38:39] offset:80
	ds_store_2addr_b64 v20, v[40:41], v[92:93] offset1:5
	ds_store_b64 v20, v[78:79] offset:80
	ds_store_2addr_b64 v109, v[42:43], v[98:99] offset1:5
	ds_store_b64 v109, v[100:101] offset:80
	ds_store_2addr_b64 v37, v[84:85], v[102:103] offset1:5
	ds_store_b64 v37, v[82:83] offset:80
	s_waitcnt lgkmcnt(0)
	s_barrier
	buffer_gl0_inv
	global_load_b128 v[37:40], v106, s[8:9] offset:176
	v_sub_nc_u16 v17, v70, v119
	v_mul_u32_u24_e32 v18, 0x8889, v12
	v_mul_u32_u24_e32 v53, 0x8889, v75
	;; [unrolled: 1-line block ×4, first 2 shown]
	v_and_b32_e32 v17, 0xffff, v17
	v_lshrrev_b32_e32 v20, 19, v18
	v_lshrrev_b32_e32 v114, 19, v53
	global_load_b128 v[53:56], v106, s[8:9] offset:160
	v_lshrrev_b32_e32 v115, 19, v76
	v_lshlrev_b32_e32 v45, 5, v17
	v_mul_lo_u16 v18, v20, 15
	v_mul_lo_u16 v76, v114, 15
	v_lshlrev_b32_e32 v19, 3, v19
	v_mul_lo_u16 v77, v115, 15
	global_load_b128 v[41:44], v45, s[8:9] offset:176
	v_sub_nc_u16 v18, v71, v18
	global_load_b128 v[45:48], v45, s[8:9] offset:160
	v_sub_nc_u16 v76, v72, v76
	v_sub_nc_u16 v77, v73, v77
	v_add3_u32 v119, 0, v15, v19
	v_and_b32_e32 v18, 0xffff, v18
	v_mul_u32_u24_e32 v120, 0x168, v20
	v_and_b32_e32 v116, 0xffff, v76
	v_and_b32_e32 v117, 0xffff, v77
	v_mul_u32_u24_e32 v115, 0x168, v115
	v_lshlrev_b32_e32 v57, 5, v18
	v_lshlrev_b32_e32 v121, 3, v18
	v_lshlrev_b32_e32 v84, 5, v116
	v_lshlrev_b32_e32 v92, 5, v117
	v_lshlrev_b32_e32 v17, 3, v17
	s_clause 0x5
	global_load_b128 v[49:52], v57, s[8:9] offset:160
	global_load_b128 v[76:79], v57, s[8:9] offset:176
	;; [unrolled: 1-line block ×6, first 2 shown]
	ds_load_2addr_b64 v[96:99], v65 offset0:6 offset1:249
	ds_load_2addr_b64 v[100:103], v67 offset0:2 offset1:245
	v_lshrrev_b16 v57, 8, v14
	v_mul_u32_u24_e32 v14, 0x2d83, v13
	v_mul_u32_u24_e32 v114, 0x168, v114
	;; [unrolled: 1-line block ×3, first 2 shown]
	s_delay_alu instid0(VALU_DEP_3) | instskip(NEXT) | instid1(VALU_DEP_1)
	v_lshrrev_b32_e32 v14, 19, v14
	v_mul_lo_u16 v118, v14, 45
	s_delay_alu instid0(VALU_DEP_1) | instskip(SKIP_1) | instid1(VALU_DEP_2)
	v_sub_nc_u16 v15, v70, v118
	v_mul_u32_u24_e32 v118, 0x168, v16
	v_and_b32_e32 v15, 0xffff, v15
	s_waitcnt vmcnt(9) lgkmcnt(1)
	v_mul_f64 v[106:107], v[96:97], v[39:40]
	v_mul_f64 v[39:40], v[21:22], v[39:40]
	s_waitcnt vmcnt(7)
	v_mul_f64 v[108:109], v[98:99], v[43:44]
	v_mul_f64 v[43:44], v[23:24], v[43:44]
	s_waitcnt vmcnt(6) lgkmcnt(0)
	v_mul_f64 v[110:111], v[100:101], v[47:48]
	v_fma_f64 v[106:107], v[21:22], v[37:38], -v[106:107]
	v_fma_f64 v[96:97], v[96:97], v[37:38], v[39:40]
	v_mul_f64 v[37:38], v[25:26], v[47:48]
	s_waitcnt vmcnt(5)
	v_mul_f64 v[47:48], v[102:103], v[51:52]
	v_fma_f64 v[108:109], v[23:24], v[41:42], -v[108:109]
	v_fma_f64 v[41:42], v[98:99], v[41:42], v[43:44]
	v_mul_f64 v[43:44], v[27:28], v[51:52]
	ds_load_2addr_b64 v[21:24], v66 offset0:12 offset1:255
	v_fma_f64 v[98:99], v[25:26], v[45:46], -v[110:111]
	s_waitcnt lgkmcnt(0)
	v_mul_f64 v[51:52], v[23:24], v[55:56]
	v_fma_f64 v[45:46], v[100:101], v[45:46], v[37:38]
	ds_load_2addr_b64 v[37:40], v69 offset0:4 offset1:247
	v_fma_f64 v[47:48], v[27:28], v[49:50], -v[47:48]
	ds_load_2addr_b64 v[25:28], v68 offset0:8 offset1:251
	ds_load_b64 v[100:101], v58 offset:27216
	v_mul_f64 v[55:56], v[2:3], v[55:56]
	v_fma_f64 v[43:44], v[102:103], v[49:50], v[43:44]
	s_waitcnt vmcnt(4) lgkmcnt(2)
	v_mul_f64 v[49:50], v[37:38], v[78:79]
	s_waitcnt vmcnt(3)
	v_mul_f64 v[102:103], v[39:40], v[82:83]
	s_waitcnt vmcnt(1) lgkmcnt(1)
	v_mul_f64 v[112:113], v[27:28], v[90:91]
	v_mul_f64 v[110:111], v[25:26], v[86:87]
	v_fma_f64 v[51:52], v[2:3], v[53:54], -v[51:52]
	v_fma_f64 v[2:3], v[23:24], v[53:54], v[55:56]
	s_waitcnt vmcnt(0) lgkmcnt(0)
	v_mul_f64 v[23:24], v[100:101], v[94:95]
	v_mul_f64 v[53:54], v[29:30], v[78:79]
	;; [unrolled: 1-line block ×3, first 2 shown]
	v_fma_f64 v[29:30], v[29:30], v[76:77], -v[49:50]
	v_fma_f64 v[49:50], v[31:32], v[80:81], -v[102:103]
	v_mul_f64 v[31:32], v[31:32], v[82:83]
	v_fma_f64 v[78:79], v[35:36], v[88:89], -v[112:113]
	v_mul_f64 v[35:36], v[35:36], v[90:91]
	v_mul_f64 v[82:83], v[104:105], v[94:95]
	v_fma_f64 v[33:34], v[33:34], v[84:85], -v[110:111]
	v_sub_nc_u16 v90, v64, v57
	s_delay_alu instid0(VALU_DEP_1) | instskip(NEXT) | instid1(VALU_DEP_1)
	v_lshrrev_b16 v90, 1, v90
	v_and_b32_e32 v112, 0x7f, v90
	v_add_f64 v[90:91], v[8:9], v[51:52]
	v_add_f64 v[110:111], v[2:3], -v[96:97]
	v_fma_f64 v[86:87], v[104:105], v[92:93], -v[23:24]
	v_fma_f64 v[37:38], v[37:38], v[76:77], v[53:54]
	v_add_f64 v[53:54], v[51:52], v[106:107]
	v_add_f64 v[76:77], v[2:3], v[96:97]
	v_add_nc_u16 v57, v112, v57
	s_delay_alu instid0(VALU_DEP_1) | instskip(NEXT) | instid1(VALU_DEP_1)
	v_lshrrev_b16 v16, 5, v57
	v_mul_lo_u16 v57, v16, 45
	v_fma_f64 v[31:32], v[39:40], v[80:81], v[31:32]
	v_fma_f64 v[39:40], v[25:26], v[84:85], v[55:56]
	v_add_f64 v[55:56], v[98:99], v[108:109]
	v_fma_f64 v[27:28], v[27:28], v[88:89], v[35:36]
	v_fma_f64 v[35:36], v[100:101], v[92:93], v[82:83]
	v_add_f64 v[82:83], v[47:48], v[29:30]
	v_add_f64 v[80:81], v[45:46], v[41:42]
	;; [unrolled: 1-line block ×3, first 2 shown]
	ds_load_2addr_b64 v[23:26], v58 offset1:243
	v_add_f64 v[92:93], v[10:11], v[98:99]
	v_sub_nc_u16 v57, v64, v57
	v_add_f64 v[88:89], v[78:79], v[86:87]
	v_add_f64 v[102:103], v[43:44], v[37:38]
	v_fma_f64 v[8:9], v[53:54], -0.5, v[8:9]
	v_add_f64 v[53:54], v[4:5], v[47:48]
	v_add_f64 v[47:48], v[47:48], -v[29:30]
	s_waitcnt lgkmcnt(0)
	v_add_f64 v[94:95], v[23:24], v[2:3]
	v_add_f64 v[100:101], v[25:26], v[45:46]
	v_fma_f64 v[23:24], v[76:77], -0.5, v[23:24]
	v_add_f64 v[76:77], v[6:7], v[33:34]
	v_add_f64 v[45:46], v[45:46], -v[41:42]
	v_add_f64 v[33:34], v[33:34], -v[49:50]
	v_add_f64 v[104:105], v[39:40], v[31:32]
	v_fma_f64 v[10:11], v[55:56], -0.5, v[10:11]
	v_add_f64 v[55:56], v[27:28], v[35:36]
	v_fma_f64 v[82:83], v[82:83], -0.5, v[4:5]
	ds_load_2addr_b64 v[2:5], v59 offset0:6 offset1:249
	v_fma_f64 v[25:26], v[80:81], -0.5, v[25:26]
	v_add_f64 v[80:81], v[0:1], v[78:79]
	v_fma_f64 v[6:7], v[84:85], -0.5, v[6:7]
	v_add_f64 v[84:85], v[43:44], -v[37:38]
	v_add_f64 v[112:113], v[27:28], -v[35:36]
	v_add_f64 v[27:28], v[21:22], v[27:28]
	v_add_f64 v[78:79], v[78:79], -v[86:87]
	s_waitcnt lgkmcnt(0)
	s_barrier
	buffer_gl0_inv
	v_fma_f64 v[0:1], v[88:89], -0.5, v[0:1]
	v_add_f64 v[88:89], v[39:40], -v[31:32]
	v_add_f64 v[29:30], v[53:54], v[29:30]
	v_add_f64 v[18:19], v[2:3], v[43:44]
	v_add_f64 v[43:44], v[51:52], -v[106:107]
	v_add_f64 v[51:52], v[98:99], -v[108:109]
	v_fma_f64 v[2:3], v[102:103], -0.5, v[2:3]
	v_add_f64 v[39:40], v[4:5], v[39:40]
	v_add_f64 v[49:50], v[76:77], v[49:50]
	v_fma_f64 v[76:77], v[110:111], s[4:5], v[8:9]
	v_fma_f64 v[8:9], v[110:111], s[10:11], v[8:9]
	v_add_f64 v[41:42], v[100:101], v[41:42]
	v_add3_u32 v110, 0, v120, v121
	v_fma_f64 v[4:5], v[104:105], -0.5, v[4:5]
	v_fma_f64 v[20:21], v[55:56], -0.5, v[21:22]
	v_add_f64 v[55:56], v[90:91], v[106:107]
	v_add_f64 v[90:91], v[92:93], v[108:109]
	v_lshlrev_b32_e32 v22, 3, v116
	v_add_f64 v[53:54], v[80:81], v[86:87]
	v_fma_f64 v[80:81], v[45:46], s[4:5], v[10:11]
	v_fma_f64 v[10:11], v[45:46], s[10:11], v[10:11]
	;; [unrolled: 1-line block ×4, first 2 shown]
	v_add_f64 v[92:93], v[27:28], v[35:36]
	v_add3_u32 v109, 0, v118, v17
	v_add3_u32 v111, 0, v114, v22
	v_and_b32_e32 v17, 0xff, v57
	v_lshlrev_b32_e32 v108, 5, v15
	v_fma_f64 v[86:87], v[112:113], s[4:5], v[0:1]
	v_fma_f64 v[84:85], v[88:89], s[4:5], v[6:7]
	;; [unrolled: 1-line block ×3, first 2 shown]
	v_lshlrev_b32_e32 v88, 3, v117
	v_fma_f64 v[0:1], v[112:113], s[10:11], v[0:1]
	v_lshlrev_b32_e32 v113, 5, v17
	v_add_f64 v[18:19], v[18:19], v[37:38]
	v_lshlrev_b32_e32 v17, 3, v17
	v_add3_u32 v112, 0, v115, v88
	v_add_f64 v[88:89], v[94:95], v[96:97]
	v_fma_f64 v[94:95], v[43:44], s[10:11], v[23:24]
	v_fma_f64 v[43:44], v[43:44], s[4:5], v[23:24]
	;; [unrolled: 1-line block ×6, first 2 shown]
	v_add_f64 v[38:39], v[39:40], v[31:32]
	ds_store_2addr_b64 v119, v[55:56], v[76:77] offset1:15
	ds_store_b64 v119, v[8:9] offset:240
	ds_store_2addr_b64 v109, v[90:91], v[80:81] offset1:15
	ds_store_b64 v109, v[10:11] offset:240
	;; [unrolled: 2-line block ×5, first 2 shown]
	v_fma_f64 v[100:101], v[33:34], s[10:11], v[4:5]
	v_fma_f64 v[102:103], v[33:34], s[4:5], v[4:5]
	;; [unrolled: 1-line block ×4, first 2 shown]
	s_waitcnt lgkmcnt(0)
	s_barrier
	buffer_gl0_inv
	ds_load_2addr_b64 v[8:11], v58 offset1:243
	ds_load_2addr_b64 v[0:3], v66 offset0:12 offset1:255
	ds_load_2addr_b64 v[22:25], v65 offset0:6 offset1:249
	;; [unrolled: 1-line block ×6, first 2 shown]
	ds_load_b64 v[106:107], v58 offset:27216
	s_waitcnt lgkmcnt(0)
	s_barrier
	buffer_gl0_inv
	ds_store_2addr_b64 v119, v[88:89], v[94:95] offset1:15
	ds_store_b64 v119, v[43:44] offset:240
	ds_store_2addr_b64 v109, v[41:42], v[96:97] offset1:15
	ds_store_b64 v109, v[51:52] offset:240
	;; [unrolled: 2-line block ×5, first 2 shown]
	v_mul_u32_u24_e32 v18, 0x2d83, v12
	s_waitcnt lgkmcnt(0)
	s_barrier
	buffer_gl0_inv
	s_clause 0x1
	global_load_b128 v[38:41], v113, s[8:9] offset:656
	global_load_b128 v[42:45], v108, s[8:9] offset:656
	v_lshrrev_b32_e32 v19, 19, v18
	global_load_b128 v[46:49], v108, s[8:9] offset:640
	v_mul_u32_u24_e32 v20, 0x2d83, v75
	v_mul_u32_u24_e32 v85, 0x2d83, v74
	v_mul_lo_u16 v18, v19, 45
	v_mul_u32_u24_e32 v19, 0x438, v19
	s_delay_alu instid0(VALU_DEP_4) | instskip(NEXT) | instid1(VALU_DEP_4)
	v_lshrrev_b32_e32 v21, 19, v20
	v_lshrrev_b32_e32 v118, 19, v85
	s_delay_alu instid0(VALU_DEP_4) | instskip(NEXT) | instid1(VALU_DEP_3)
	v_sub_nc_u16 v18, v71, v18
	v_mul_lo_u16 v20, v21, 45
	s_delay_alu instid0(VALU_DEP_3) | instskip(SKIP_1) | instid1(VALU_DEP_4)
	v_mul_lo_u16 v85, v118, 45
	v_mul_u32_u24_e32 v21, 0x438, v21
	v_and_b32_e32 v18, 0xffff, v18
	s_delay_alu instid0(VALU_DEP_4) | instskip(NEXT) | instid1(VALU_DEP_4)
	v_sub_nc_u16 v20, v72, v20
	v_sub_nc_u16 v85, v73, v85
	s_delay_alu instid0(VALU_DEP_3) | instskip(SKIP_1) | instid1(VALU_DEP_4)
	v_lshlrev_b32_e32 v54, 5, v18
	v_lshlrev_b32_e32 v18, 3, v18
	v_and_b32_e32 v20, 0xffff, v20
	s_delay_alu instid0(VALU_DEP_4)
	v_and_b32_e32 v119, 0xffff, v85
	global_load_b128 v[50:53], v54, s[8:9] offset:640
	v_lshlrev_b32_e32 v84, 5, v20
	s_clause 0x2
	global_load_b128 v[54:57], v54, s[8:9] offset:656
	global_load_b128 v[76:79], v84, s[8:9] offset:656
	;; [unrolled: 1-line block ×3, first 2 shown]
	v_lshlrev_b32_e32 v92, 5, v119
	s_clause 0x2
	global_load_b128 v[84:87], v84, s[8:9] offset:640
	global_load_b128 v[88:91], v92, s[8:9] offset:640
	;; [unrolled: 1-line block ×3, first 2 shown]
	ds_load_2addr_b64 v[96:99], v65 offset0:6 offset1:249
	ds_load_2addr_b64 v[100:103], v67 offset0:2 offset1:245
	v_lshlrev_b32_e32 v20, 3, v20
	s_waitcnt vmcnt(9) lgkmcnt(1)
	v_mul_f64 v[104:105], v[96:97], v[40:41]
	v_mul_f64 v[40:41], v[22:23], v[40:41]
	s_waitcnt vmcnt(8)
	v_mul_f64 v[108:109], v[98:99], v[44:45]
	v_mul_f64 v[44:45], v[24:25], v[44:45]
	s_waitcnt vmcnt(7) lgkmcnt(0)
	v_mul_f64 v[110:111], v[100:101], v[48:49]
	v_mul_f64 v[48:49], v[26:27], v[48:49]
	s_waitcnt vmcnt(6)
	v_mul_f64 v[112:113], v[102:103], v[52:53]
	v_fma_f64 v[104:105], v[22:23], v[38:39], -v[104:105]
	v_fma_f64 v[96:97], v[96:97], v[38:39], v[40:41]
	v_fma_f64 v[108:109], v[24:25], v[42:43], -v[108:109]
	ds_load_2addr_b64 v[22:25], v69 offset0:4 offset1:247
	v_fma_f64 v[42:43], v[98:99], v[42:43], v[44:45]
	ds_load_2addr_b64 v[38:41], v66 offset0:12 offset1:255
	v_mul_f64 v[44:45], v[28:29], v[52:53]
	v_fma_f64 v[110:111], v[26:27], v[46:47], -v[110:111]
	v_fma_f64 v[46:47], v[100:101], v[46:47], v[48:49]
	s_waitcnt vmcnt(5) lgkmcnt(1)
	v_mul_f64 v[52:53], v[22:23], v[56:57]
	s_waitcnt vmcnt(4)
	v_mul_f64 v[98:99], v[24:25], v[78:79]
	s_waitcnt vmcnt(3) lgkmcnt(0)
	v_mul_f64 v[48:49], v[40:41], v[82:83]
	v_mul_f64 v[82:83], v[2:3], v[82:83]
	v_fma_f64 v[100:101], v[28:29], v[50:51], -v[112:113]
	ds_load_2addr_b64 v[26:29], v68 offset0:8 offset1:251
	v_mul_f64 v[56:57], v[30:31], v[56:57]
	v_mul_f64 v[78:79], v[32:33], v[78:79]
	v_fma_f64 v[44:45], v[102:103], v[50:51], v[44:45]
	ds_load_b64 v[50:51], v58 offset:27216
	v_add_f64 v[112:113], v[10:11], v[110:111]
	s_waitcnt vmcnt(2) lgkmcnt(1)
	v_mul_f64 v[102:103], v[26:27], v[86:87]
	v_fma_f64 v[52:53], v[30:31], v[54:55], -v[52:53]
	v_fma_f64 v[98:99], v[32:33], v[76:77], -v[98:99]
	v_mul_f64 v[30:31], v[34:35], v[86:87]
	s_waitcnt vmcnt(1)
	v_mul_f64 v[32:33], v[28:29], v[90:91]
	v_fma_f64 v[2:3], v[2:3], v[80:81], -v[48:49]
	s_waitcnt vmcnt(0) lgkmcnt(0)
	v_mul_f64 v[48:49], v[50:51], v[94:95]
	v_fma_f64 v[40:41], v[40:41], v[80:81], v[82:83]
	v_mul_f64 v[80:81], v[36:37], v[90:91]
	v_fma_f64 v[54:55], v[22:23], v[54:55], v[56:57]
	;; [unrolled: 2-line block ×3, first 2 shown]
	v_add_f64 v[86:87], v[46:47], v[42:43]
	v_add_f64 v[82:83], v[110:111], v[108:109]
	v_mul_u32_u24_e32 v78, 0x438, v118
	v_fma_f64 v[34:35], v[34:35], v[84:85], -v[102:103]
	v_add_f64 v[90:91], v[100:101], v[52:53]
	v_fma_f64 v[26:27], v[26:27], v[84:85], v[30:31]
	v_fma_f64 v[36:37], v[36:37], v[88:89], -v[32:33]
	v_add_f64 v[76:77], v[2:3], v[104:105]
	v_fma_f64 v[48:49], v[106:107], v[92:93], -v[48:49]
	v_add_f64 v[84:85], v[40:41], v[96:97]
	v_fma_f64 v[80:81], v[28:29], v[88:89], v[80:81]
	v_add_f64 v[88:89], v[44:45], v[54:55]
	v_fma_f64 v[50:51], v[50:51], v[92:93], v[22:23]
	ds_load_2addr_b64 v[22:25], v58 offset1:243
	v_add_nc_u32_e32 v28, 0xffffff79, v64
	ds_load_2addr_b64 v[30:33], v59 offset0:6 offset1:249
	v_mov_b32_e32 v29, 0
	v_add_f64 v[106:107], v[8:9], v[2:3]
	v_fma_f64 v[10:11], v[82:83], -0.5, v[10:11]
	v_cndmask_b32_e64 v79, v28, v64, s0
	v_add_f64 v[2:3], v[2:3], -v[104:105]
	s_waitcnt lgkmcnt(0)
	s_barrier
	buffer_gl0_inv
	v_lshlrev_b32_e32 v28, 1, v79
	v_lshlrev_b32_e32 v79, 3, v79
	v_add_f64 v[94:95], v[34:35], v[98:99]
	v_add_f64 v[114:115], v[24:25], v[46:47]
	v_fma_f64 v[24:25], v[86:87], -0.5, v[24:25]
	v_add_f64 v[86:87], v[6:7], v[34:35]
	v_add_f64 v[82:83], v[22:23], v[40:41]
	v_add_f64 v[40:41], v[40:41], -v[96:97]
	v_add_f64 v[46:47], v[46:47], -v[42:43]
	v_add_f64 v[92:93], v[26:27], v[56:57]
	v_fma_f64 v[8:9], v[76:77], -0.5, v[8:9]
	v_add_f64 v[102:103], v[36:37], v[48:49]
	v_lshlrev_b64 v[76:77], 4, v[28:29]
	v_fma_f64 v[22:23], v[84:85], -0.5, v[22:23]
	v_add_f64 v[84:85], v[4:5], v[100:101]
	v_fma_f64 v[4:5], v[90:91], -0.5, v[4:5]
	v_add_f64 v[90:91], v[30:31], v[44:45]
	v_fma_f64 v[30:31], v[88:89], -0.5, v[30:31]
	v_mul_u32_u24_e32 v28, 0x438, v14
	v_add_f64 v[44:45], v[44:45], -v[54:55]
	v_add_f64 v[116:117], v[80:81], -v[50:51]
	;; [unrolled: 1-line block ×3, first 2 shown]
	v_fma_f64 v[6:7], v[94:95], -0.5, v[6:7]
	v_add_f64 v[94:95], v[80:81], v[50:51]
	v_fma_f64 v[88:89], v[92:93], -0.5, v[32:33]
	v_add_f64 v[32:33], v[32:33], v[26:27]
	v_add_f64 v[26:27], v[26:27], -v[56:57]
	v_fma_f64 v[92:93], v[102:103], -0.5, v[0:1]
	v_add_co_u32 v102, s0, s8, v76
	v_lshrrev_b32_e32 v76, 22, v13
	v_add_f64 v[0:1], v[0:1], v[36:37]
	v_add_co_ci_u32_e64 v103, s0, s9, v77, s0
	v_add_f64 v[52:53], v[84:85], v[52:53]
	s_delay_alu instid0(VALU_DEP_4)
	v_mul_lo_u16 v13, 0x87, v76
	v_add_f64 v[84:85], v[86:87], v[98:99]
	v_add_f64 v[54:55], v[90:91], v[54:55]
	v_fma_f64 v[90:91], v[100:101], s[10:11], v[30:31]
	v_fma_f64 v[30:31], v[100:101], s[4:5], v[30:31]
	v_sub_nc_u16 v77, v70, v13
	v_add_f64 v[13:14], v[38:39], v[80:81]
	v_add_f64 v[80:81], v[110:111], -v[108:109]
	v_lshlrev_b32_e32 v110, 3, v15
	v_and_b32_e32 v111, 0xffff, v16
	v_add_f64 v[15:16], v[34:35], -v[98:99]
	v_add_f64 v[34:35], v[36:37], -v[48:49]
	v_and_b32_e32 v77, 0xffff, v77
	v_fma_f64 v[36:37], v[94:95], -0.5, v[38:39]
	v_add_f64 v[38:39], v[106:107], v[104:105]
	v_add3_u32 v104, 0, v21, v20
	v_add_f64 v[20:21], v[82:83], v[96:97]
	v_add_f64 v[94:95], v[112:113], v[108:109]
	;; [unrolled: 1-line block ×3, first 2 shown]
	v_lshlrev_b32_e32 v98, 3, v119
	v_add3_u32 v28, 0, v28, v110
	v_add3_u32 v99, 0, v19, v18
	v_cmp_gt_u32_e64 s0, 0xa2, v64
	v_add_f64 v[32:33], v[32:33], v[56:57]
	v_fma_f64 v[86:87], v[116:117], s[10:11], v[92:93]
	v_add_f64 v[0:1], v[0:1], v[48:49]
	v_fma_f64 v[48:49], v[40:41], s[4:5], v[8:9]
	v_fma_f64 v[8:9], v[40:41], s[10:11], v[8:9]
	;; [unrolled: 1-line block ×9, first 2 shown]
	v_add_f64 v[13:14], v[13:14], v[50:51]
	v_fma_f64 v[50:51], v[2:3], s[10:11], v[22:23]
	v_mul_u32_u24_e32 v92, 0x438, v111
	v_fma_f64 v[22:23], v[2:3], s[4:5], v[22:23]
	v_fma_f64 v[56:57], v[80:81], s[10:11], v[24:25]
	;; [unrolled: 1-line block ×3, first 2 shown]
	s_delay_alu instid0(VALU_DEP_4)
	v_add3_u32 v105, 0, v92, v17
	v_fma_f64 v[92:93], v[15:16], s[10:11], v[88:89]
	v_fma_f64 v[88:89], v[15:16], s[4:5], v[88:89]
	;; [unrolled: 1-line block ×4, first 2 shown]
	v_add3_u32 v15, 0, v78, v98
	ds_store_2addr_b64 v105, v[38:39], v[48:49] offset1:45
	ds_store_b64 v105, v[8:9] offset:720
	ds_store_2addr_b64 v28, v[94:95], v[40:41] offset1:45
	ds_store_b64 v28, v[10:11] offset:720
	;; [unrolled: 2-line block ×5, first 2 shown]
	s_waitcnt lgkmcnt(0)
	s_barrier
	buffer_gl0_inv
	ds_load_2addr_b64 v[8:11], v58 offset1:243
	ds_load_2addr_b64 v[0:3], v66 offset0:12 offset1:255
	ds_load_2addr_b64 v[16:19], v65 offset0:6 offset1:249
	;; [unrolled: 1-line block ×6, first 2 shown]
	ds_load_b64 v[114:115], v58 offset:27216
	s_waitcnt lgkmcnt(0)
	s_barrier
	buffer_gl0_inv
	ds_store_2addr_b64 v105, v[20:21], v[50:51] offset1:45
	ds_store_b64 v105, v[22:23] offset:720
	ds_store_2addr_b64 v28, v[82:83], v[56:57] offset1:45
	ds_store_b64 v28, v[80:81] offset:720
	;; [unrolled: 2-line block ×5, first 2 shown]
	v_lshlrev_b32_e32 v20, 5, v77
	s_waitcnt lgkmcnt(0)
	s_barrier
	buffer_gl0_inv
	global_load_b128 v[30:33], v[102:103], off offset:2096
	v_mul_u32_u24_e32 v21, 0x795d, v12
	s_clause 0x1
	global_load_b128 v[12:15], v20, s[8:9] offset:2096
	global_load_b128 v[44:47], v20, s[8:9] offset:2080
	v_mul_u32_u24_e32 v22, 0x795d, v74
	v_add_nc_u32_e32 v28, 0xffffff5e, v64
	v_lshrrev_b32_e32 v80, 22, v21
	s_delay_alu instid0(VALU_DEP_3) | instskip(NEXT) | instid1(VALU_DEP_3)
	v_lshrrev_b32_e32 v85, 22, v22
	v_cndmask_b32_e64 v83, v28, v70, s0
	s_delay_alu instid0(VALU_DEP_3) | instskip(SKIP_3) | instid1(VALU_DEP_4)
	v_mul_lo_u16 v21, 0x87, v80
	v_cmp_lt_u32_e64 s0, 0x86, v64
	v_mul_u32_u24_e32 v80, 0xca8, v80
	v_mul_lo_u16 v22, 0x87, v85
	v_sub_nc_u16 v21, v71, v21
	s_delay_alu instid0(VALU_DEP_4) | instskip(NEXT) | instid1(VALU_DEP_3)
	v_cndmask_b32_e64 v28, 0, 0xca8, s0
	v_sub_nc_u16 v22, v73, v22
	s_delay_alu instid0(VALU_DEP_3) | instskip(SKIP_1) | instid1(VALU_DEP_3)
	v_and_b32_e32 v78, 0xffff, v21
	v_mul_u32_u24_e32 v21, 0x795d, v75
	v_and_b32_e32 v81, 0xffff, v22
	s_delay_alu instid0(VALU_DEP_3) | instskip(NEXT) | instid1(VALU_DEP_3)
	v_lshlrev_b32_e32 v20, 5, v78
	v_lshrrev_b32_e32 v84, 22, v21
	v_lshlrev_b32_e32 v78, 3, v78
	s_delay_alu instid0(VALU_DEP_4) | instskip(SKIP_3) | instid1(VALU_DEP_2)
	v_lshlrev_b32_e32 v22, 5, v81
	global_load_b128 v[48:51], v20, s[8:9] offset:2080
	v_mul_lo_u16 v21, 0x87, v84
	v_mul_u32_u24_e32 v84, 0xca8, v84
	v_sub_nc_u16 v21, v72, v21
	s_delay_alu instid0(VALU_DEP_1) | instskip(NEXT) | instid1(VALU_DEP_1)
	v_and_b32_e32 v82, 0xffff, v21
	v_lshlrev_b32_e32 v21, 5, v82
	s_clause 0x5
	global_load_b128 v[54:57], v20, s[8:9] offset:2096
	global_load_b128 v[86:89], v21, s[8:9] offset:2096
	;; [unrolled: 1-line block ×4, first 2 shown]
	global_load_b128 v[98:101], v[102:103], off offset:2080
	global_load_b128 v[102:105], v22, s[8:9] offset:2096
	ds_load_2addr_b64 v[106:109], v65 offset0:6 offset1:249
	ds_load_2addr_b64 v[110:113], v69 offset0:4 offset1:247
	v_lshlrev_b32_e32 v82, 3, v82
	s_delay_alu instid0(VALU_DEP_1)
	v_add3_u32 v82, 0, v84, v82
	s_waitcnt vmcnt(9) lgkmcnt(1)
	v_mul_f64 v[20:21], v[106:107], v[32:33]
	v_mul_f64 v[22:23], v[16:17], v[32:33]
	s_waitcnt vmcnt(8)
	v_mul_f64 v[52:53], v[108:109], v[14:15]
	ds_load_2addr_b64 v[32:35], v67 offset0:2 offset1:245
	v_mul_f64 v[14:15], v[18:19], v[14:15]
	s_waitcnt vmcnt(7) lgkmcnt(0)
	v_mul_f64 v[116:117], v[32:33], v[46:47]
	v_mul_f64 v[46:47], v[24:25], v[46:47]
	s_waitcnt vmcnt(6)
	v_mul_f64 v[118:119], v[34:35], v[50:51]
	v_mul_f64 v[50:51], v[26:27], v[50:51]
	v_fma_f64 v[20:21], v[16:17], v[30:31], -v[20:21]
	v_fma_f64 v[16:17], v[106:107], v[30:31], v[22:23]
	v_fma_f64 v[22:23], v[18:19], v[12:13], -v[52:53]
	v_fma_f64 v[18:19], v[108:109], v[12:13], v[14:15]
	ds_load_2addr_b64 v[106:109], v68 offset0:8 offset1:251
	ds_load_2addr_b64 v[12:15], v66 offset0:12 offset1:255
	s_waitcnt vmcnt(5)
	v_mul_f64 v[52:53], v[110:111], v[56:57]
	s_waitcnt vmcnt(4)
	v_mul_f64 v[120:121], v[112:113], v[88:89]
	v_mul_f64 v[56:57], v[36:37], v[56:57]
	;; [unrolled: 1-line block ×3, first 2 shown]
	v_fma_f64 v[24:25], v[24:25], v[44:45], -v[116:117]
	v_fma_f64 v[30:31], v[32:33], v[44:45], v[46:47]
	s_waitcnt vmcnt(3) lgkmcnt(1)
	v_mul_f64 v[32:33], v[106:107], v[92:93]
	s_waitcnt vmcnt(2)
	v_mul_f64 v[46:47], v[108:109], v[96:97]
	ds_load_b64 v[116:117], v58 offset:27216
	v_mul_f64 v[92:93], v[40:41], v[92:93]
	v_fma_f64 v[26:27], v[26:27], v[48:49], -v[118:119]
	v_fma_f64 v[44:45], v[34:35], v[48:49], v[50:51]
	s_waitcnt vmcnt(1) lgkmcnt(1)
	v_mul_f64 v[48:49], v[14:15], v[100:101]
	v_mul_f64 v[50:51], v[2:3], v[100:101]
	v_add3_u32 v118, 0, v28, v79
	v_mul_u32_u24_e32 v79, 0xca8, v76
	v_lshlrev_b32_e32 v28, 1, v64
	v_fma_f64 v[34:35], v[36:37], v[54:55], -v[52:53]
	v_fma_f64 v[36:37], v[38:39], v[86:87], -v[120:121]
	v_add_f64 v[100:101], v[30:31], v[18:19]
	v_fma_f64 v[38:39], v[40:41], v[90:91], -v[32:33]
	v_fma_f64 v[40:41], v[42:43], v[94:95], -v[46:47]
	v_mul_f64 v[32:33], v[42:43], v[96:97]
	s_waitcnt vmcnt(0) lgkmcnt(0)
	v_mul_f64 v[42:43], v[116:117], v[104:105]
	v_mul_f64 v[96:97], v[114:115], v[104:105]
	v_fma_f64 v[46:47], v[2:3], v[98:99], -v[48:49]
	v_fma_f64 v[52:53], v[14:15], v[98:99], v[50:51]
	v_fma_f64 v[2:3], v[110:111], v[54:55], v[56:57]
	;; [unrolled: 1-line block ×4, first 2 shown]
	v_add_f64 v[56:57], v[24:25], v[22:23]
	v_add_f64 v[110:111], v[10:11], v[24:25]
	ds_load_2addr_b64 v[86:89], v58 offset1:243
	ds_load_2addr_b64 v[90:93], v59 offset0:6 offset1:249
	v_add_f64 v[24:25], v[24:25], -v[22:23]
	s_waitcnt lgkmcnt(0)
	s_barrier
	buffer_gl0_inv
	v_fma_f64 v[48:49], v[108:109], v[94:95], v[32:33]
	v_fma_f64 v[42:43], v[114:115], v[102:103], -v[42:43]
	v_fma_f64 v[32:33], v[116:117], v[102:103], v[96:97]
	v_add_f64 v[94:95], v[26:27], v[34:35]
	v_add_f64 v[96:97], v[38:39], v[36:37]
	v_mul_u32_u24_e32 v116, 0x43a3, v75
	v_add_f64 v[54:55], v[46:47], v[20:21]
	v_add_f64 v[98:99], v[52:53], v[16:17]
	;; [unrolled: 1-line block ×3, first 2 shown]
	v_mul_u32_u24_e32 v117, 0x43a3, v74
	v_add_f64 v[106:107], v[50:51], v[14:15]
	v_fma_f64 v[10:11], v[56:57], -0.5, v[10:11]
	v_add_f64 v[74:75], v[8:9], v[46:47]
	v_add_f64 v[112:113], v[86:87], v[52:53]
	v_add_f64 v[52:53], v[52:53], -v[16:17]
	v_add_f64 v[46:47], v[46:47], -v[20:21]
	v_lshrrev_b32_e32 v119, 16, v116
	v_lshrrev_b32_e32 v120, 16, v117
	v_add_f64 v[116:117], v[90:91], v[44:45]
	v_add_f64 v[22:23], v[110:111], v[22:23]
	v_dual_mov_b32 v109, v29 :: v_dual_lshlrev_b32 v108, 1, v83
	s_delay_alu instid0(VALU_DEP_1)
	v_lshlrev_b64 v[108:109], 4, v[108:109]
	v_add_f64 v[102:103], v[40:41], v[42:43]
	v_add_f64 v[56:57], v[48:49], v[32:33]
	v_add_f64 v[114:115], v[48:49], -v[32:33]
	v_add_f64 v[48:49], v[12:13], v[48:49]
	v_fma_f64 v[8:9], v[54:55], -0.5, v[8:9]
	v_add_f64 v[54:55], v[4:5], v[26:27]
	v_fma_f64 v[4:5], v[94:95], -0.5, v[4:5]
	v_fma_f64 v[94:95], v[96:97], -0.5, v[6:7]
	v_add_f64 v[6:7], v[6:7], v[38:39]
	v_add_f64 v[96:97], v[0:1], v[40:41]
	v_fma_f64 v[86:87], v[98:99], -0.5, v[86:87]
	v_fma_f64 v[98:99], v[100:101], -0.5, v[88:89]
	v_add_f64 v[88:89], v[88:89], v[30:31]
	v_add_f64 v[30:31], v[30:31], -v[18:19]
	v_add_f64 v[100:101], v[44:45], -v[2:3]
	v_fma_f64 v[90:91], v[104:105], -0.5, v[90:91]
	v_add_f64 v[26:27], v[26:27], -v[34:35]
	v_add_f64 v[38:39], v[38:39], -v[36:37]
	;; [unrolled: 1-line block ×3, first 2 shown]
	v_mul_u32_u24_e32 v104, 0xca8, v85
	v_lshlrev_b32_e32 v85, 3, v77
	v_add_f64 v[20:21], v[74:75], v[20:21]
	v_lshlrev_b64 v[44:45], 4, v[28:29]
	v_add_nc_u32_e32 v28, 0xa2, v28
	s_delay_alu instid0(VALU_DEP_2) | instskip(NEXT) | instid1(VALU_DEP_1)
	v_add_co_u32 v44, s0, s8, v44
	v_add_co_ci_u32_e64 v45, s0, s9, v45, s0
	s_delay_alu instid0(VALU_DEP_2) | instskip(NEXT) | instid1(VALU_DEP_1)
	v_add_co_u32 v76, s0, 0x1900, v44
	v_add_co_ci_u32_e64 v77, s0, 0, v45, s0
	v_fma_f64 v[0:1], v[102:103], -0.5, v[0:1]
	v_add_f64 v[102:103], v[50:51], -v[14:15]
	v_add_f64 v[50:51], v[92:93], v[50:51]
	v_fma_f64 v[92:93], v[106:107], -0.5, v[92:93]
	v_fma_f64 v[12:13], v[56:57], -0.5, v[12:13]
	v_add_f64 v[32:33], v[48:49], v[32:33]
	v_add_f64 v[34:35], v[54:55], v[34:35]
	;; [unrolled: 1-line block ×4, first 2 shown]
	v_fma_f64 v[42:43], v[52:53], s[4:5], v[8:9]
	v_fma_f64 v[8:9], v[52:53], s[10:11], v[8:9]
	;; [unrolled: 1-line block ×7, first 2 shown]
	v_add3_u32 v101, 0, v79, v85
	v_fma_f64 v[46:47], v[46:47], s[4:5], v[86:87]
	v_lshlrev_b32_e32 v100, 3, v81
	v_fma_f64 v[86:87], v[24:25], s[10:11], v[98:99]
	v_add_f64 v[84:85], v[116:117], v[2:3]
	v_lshlrev_b32_e32 v116, 3, v83
	v_fma_f64 v[74:75], v[114:115], s[4:5], v[0:1]
	v_fma_f64 v[54:55], v[102:103], s[4:5], v[94:95]
	v_fma_f64 v[56:57], v[102:103], s[10:11], v[94:95]
	v_add3_u32 v102, 0, v80, v78
	v_add_f64 v[78:79], v[112:113], v[16:17]
	v_add_f64 v[80:81], v[88:89], v[18:19]
	v_fma_f64 v[88:89], v[24:25], s[4:5], v[98:99]
	v_fma_f64 v[94:95], v[26:27], s[10:11], v[90:91]
	;; [unrolled: 1-line block ×3, first 2 shown]
	v_add_f64 v[50:51], v[50:51], v[14:15]
	v_fma_f64 v[96:97], v[38:39], s[10:11], v[92:93]
	v_fma_f64 v[38:39], v[38:39], s[4:5], v[92:93]
	;; [unrolled: 1-line block ×5, first 2 shown]
	v_add3_u32 v98, 0, v104, v100
	ds_store_2addr_b64 v118, v[20:21], v[42:43] offset1:135
	ds_store_b64 v118, v[8:9] offset:2160
	ds_store_2addr_b64 v101, v[22:23], v[52:53] offset1:135
	ds_store_b64 v101, v[10:11] offset:2160
	;; [unrolled: 2-line block ×5, first 2 shown]
	s_waitcnt lgkmcnt(0)
	s_barrier
	buffer_gl0_inv
	ds_load_2addr_b64 v[0:3], v58 offset1:243
	ds_load_2addr_b64 v[4:7], v66 offset0:12 offset1:255
	ds_load_2addr_b64 v[8:11], v65 offset0:6 offset1:249
	;; [unrolled: 1-line block ×6, first 2 shown]
	ds_load_b64 v[42:43], v58 offset:27216
	s_waitcnt lgkmcnt(0)
	s_barrier
	buffer_gl0_inv
	ds_store_2addr_b64 v118, v[78:79], v[48:49] offset1:135
	ds_store_b64 v118, v[46:47] offset:2160
	ds_store_2addr_b64 v101, v[80:81], v[86:87] offset1:135
	ds_store_b64 v101, v[88:89] offset:2160
	;; [unrolled: 2-line block ×5, first 2 shown]
	v_add_co_u32 v38, s0, s8, v108
	s_delay_alu instid0(VALU_DEP_1) | instskip(SKIP_1) | instid1(VALU_DEP_3)
	v_add_co_ci_u32_e64 v39, s0, s9, v109, s0
	v_sub_nc_u16 v36, v72, v119
	v_add_co_u32 v34, s0, 0x1900, v38
	s_delay_alu instid0(VALU_DEP_1)
	v_add_co_ci_u32_e64 v35, s0, 0, v39, s0
	s_waitcnt lgkmcnt(0)
	s_barrier
	buffer_gl0_inv
	global_load_b128 v[30:33], v[76:77], off offset:16
	v_lshrrev_b16 v41, 1, v36
	global_load_b128 v[34:37], v[34:35], off offset:16
	v_sub_nc_u16 v40, v73, v120
	v_add_co_u32 v38, s0, 0x1000, v38
	v_add_nc_u16 v41, v41, v119
	v_add_co_ci_u32_e64 v39, s0, 0, v39, s0
	s_delay_alu instid0(VALU_DEP_4) | instskip(SKIP_1) | instid1(VALU_DEP_4)
	v_lshrrev_b16 v40, 1, v40
	v_add_co_u32 v46, s0, 0x1000, v44
	v_lshrrev_b16 v82, 8, v41
	v_add_co_ci_u32_e64 v47, s0, 0, v45, s0
	s_delay_alu instid0(VALU_DEP_4) | instskip(SKIP_1) | instid1(VALU_DEP_4)
	v_add_nc_u16 v40, v40, v120
	v_lshlrev_b64 v[50:51], 4, v[28:29]
	v_mul_lo_u16 v41, 0x195, v82
	s_delay_alu instid0(VALU_DEP_3) | instskip(NEXT) | instid1(VALU_DEP_2)
	v_lshrrev_b16 v40, 8, v40
	v_sub_nc_u16 v52, v72, v41
	s_delay_alu instid0(VALU_DEP_4) | instskip(NEXT) | instid1(VALU_DEP_3)
	v_add_co_u32 v53, s0, s8, v50
	v_mul_lo_u16 v28, 0x195, v40
	s_clause 0x1
	global_load_b128 v[38:41], v[38:39], off offset:2304
	global_load_b128 v[46:49], v[46:47], off offset:2304
	v_and_b32_e32 v114, 0xffff, v52
	v_add_co_ci_u32_e64 v55, s0, s9, v51, s0
	v_sub_nc_u16 v28, v73, v28
	v_add_co_u32 v50, s0, 0x1000, v53
	s_delay_alu instid0(VALU_DEP_4) | instskip(NEXT) | instid1(VALU_DEP_4)
	v_lshlrev_b32_e32 v52, 5, v114
	v_add_co_ci_u32_e64 v51, s0, 0, v55, s0
	s_delay_alu instid0(VALU_DEP_4) | instskip(SKIP_1) | instid1(VALU_DEP_1)
	v_and_b32_e32 v28, 0xffff, v28
	v_add_co_u32 v54, s0, 0x1900, v53
	v_add_co_ci_u32_e64 v55, s0, 0, v55, s0
	s_delay_alu instid0(VALU_DEP_3) | instskip(SKIP_1) | instid1(VALU_DEP_1)
	v_lshlrev_b32_e32 v53, 5, v28
	v_add_co_u32 v52, s0, s8, v52
	v_add_co_ci_u32_e64 v56, null, s9, 0, s0
	s_delay_alu instid0(VALU_DEP_3) | instskip(NEXT) | instid1(VALU_DEP_1)
	v_add_co_u32 v88, s0, s8, v53
	v_add_co_ci_u32_e64 v89, null, s9, 0, s0
	s_delay_alu instid0(VALU_DEP_4) | instskip(NEXT) | instid1(VALU_DEP_1)
	v_add_co_u32 v74, s0, 0x1900, v52
	v_add_co_ci_u32_e64 v75, s0, 0, v56, s0
	v_add_co_u32 v78, s0, 0x1000, v52
	s_delay_alu instid0(VALU_DEP_1)
	v_add_co_ci_u32_e64 v79, s0, 0, v56, s0
	v_add_co_u32 v84, s0, 0x1000, v88
	s_clause 0x1
	global_load_b128 v[50:53], v[50:51], off offset:2304
	global_load_b128 v[54:57], v[54:55], off offset:16
	v_add_co_ci_u32_e64 v85, s0, 0, v89, s0
	s_clause 0x2
	global_load_b128 v[74:77], v[74:75], off offset:16
	global_load_b128 v[78:81], v[78:79], off offset:2304
	global_load_b128 v[84:87], v[84:85], off offset:2304
	v_add_co_u32 v88, s0, 0x1900, v88
	s_delay_alu instid0(VALU_DEP_1)
	v_add_co_ci_u32_e64 v89, s0, 0, v89, s0
	ds_load_2addr_b64 v[92:95], v65 offset0:6 offset1:249
	v_cmp_lt_u32_e64 s0, 0xa1, v64
	v_lshl_add_u32 v28, v28, 3, 0
	global_load_b128 v[88:91], v[88:89], off offset:16
	ds_load_2addr_b64 v[96:99], v67 offset0:2 offset1:245
	ds_load_2addr_b64 v[100:103], v66 offset0:12 offset1:255
	v_cndmask_b32_e64 v115, 0, 0x25f8, s0
	s_waitcnt vmcnt(9) lgkmcnt(2)
	v_mul_f64 v[104:105], v[92:93], v[32:33]
	v_mul_f64 v[32:33], v[8:9], v[32:33]
	s_waitcnt vmcnt(8)
	v_mul_f64 v[106:107], v[94:95], v[36:37]
	v_mul_f64 v[36:37], v[10:11], v[36:37]
	s_waitcnt vmcnt(7) lgkmcnt(1)
	v_mul_f64 v[108:109], v[96:97], v[40:41]
	v_mul_f64 v[40:41], v[12:13], v[40:41]
	s_waitcnt vmcnt(6) lgkmcnt(0)
	v_mul_f64 v[110:111], v[102:103], v[48:49]
	v_mul_f64 v[48:49], v[6:7], v[48:49]
	v_fma_f64 v[104:105], v[8:9], v[30:31], -v[104:105]
	v_fma_f64 v[92:93], v[92:93], v[30:31], v[32:33]
	v_fma_f64 v[106:107], v[10:11], v[34:35], -v[106:107]
	ds_load_2addr_b64 v[8:11], v69 offset0:4 offset1:247
	v_fma_f64 v[34:35], v[94:95], v[34:35], v[36:37]
	ds_load_2addr_b64 v[30:33], v68 offset0:8 offset1:251
	ds_load_b64 v[36:37], v58 offset:27216
	s_waitcnt vmcnt(5)
	v_mul_f64 v[94:95], v[98:99], v[52:53]
	s_waitcnt vmcnt(4) lgkmcnt(2)
	v_mul_f64 v[112:113], v[8:9], v[56:57]
	v_fma_f64 v[108:109], v[12:13], v[38:39], -v[108:109]
	s_waitcnt vmcnt(3)
	v_mul_f64 v[12:13], v[10:11], v[76:77]
	v_fma_f64 v[38:39], v[96:97], v[38:39], v[40:41]
	s_waitcnt vmcnt(2) lgkmcnt(1)
	v_mul_f64 v[40:41], v[30:31], v[80:81]
	v_fma_f64 v[96:97], v[6:7], v[46:47], -v[110:111]
	s_waitcnt vmcnt(1)
	v_mul_f64 v[6:7], v[32:33], v[86:87]
	v_fma_f64 v[46:47], v[102:103], v[46:47], v[48:49]
	s_waitcnt vmcnt(0) lgkmcnt(0)
	v_mul_f64 v[48:49], v[36:37], v[90:91]
	v_fma_f64 v[94:95], v[14:15], v[50:51], -v[94:95]
	v_mul_f64 v[14:15], v[14:15], v[52:53]
	v_mul_f64 v[52:53], v[20:21], v[56:57]
	v_fma_f64 v[20:21], v[20:21], v[54:55], -v[112:113]
	v_fma_f64 v[56:57], v[22:23], v[74:75], -v[12:13]
	v_mul_f64 v[12:13], v[22:23], v[76:77]
	v_mul_f64 v[22:23], v[24:25], v[80:81]
	v_fma_f64 v[24:25], v[24:25], v[78:79], -v[40:41]
	v_fma_f64 v[40:41], v[26:27], v[84:85], -v[6:7]
	v_mul_f64 v[6:7], v[26:27], v[86:87]
	v_mul_f64 v[26:27], v[42:43], v[90:91]
	v_add_f64 v[76:77], v[46:47], v[92:93]
	v_fma_f64 v[42:43], v[42:43], v[88:89], -v[48:49]
	v_add_f64 v[90:91], v[46:47], -v[92:93]
	v_fma_f64 v[14:15], v[98:99], v[50:51], v[14:15]
	v_fma_f64 v[48:49], v[8:9], v[54:55], v[52:53]
	v_add_f64 v[52:53], v[94:95], v[20:21]
	v_add_f64 v[98:99], v[38:39], -v[34:35]
	v_fma_f64 v[50:51], v[10:11], v[74:75], v[12:13]
	v_fma_f64 v[22:23], v[30:31], v[78:79], v[22:23]
	v_add_f64 v[54:55], v[24:25], v[56:57]
	v_add_f64 v[78:79], v[38:39], v[34:35]
	v_fma_f64 v[30:31], v[32:33], v[84:85], v[6:7]
	v_fma_f64 v[26:27], v[36:37], v[88:89], v[26:27]
	v_add_f64 v[32:33], v[96:97], v[104:105]
	v_add_f64 v[36:37], v[108:109], v[106:107]
	;; [unrolled: 1-line block ×4, first 2 shown]
	ds_load_2addr_b64 v[6:9], v58 offset1:243
	ds_load_2addr_b64 v[10:13], v59 offset0:6 offset1:249
	s_waitcnt lgkmcnt(0)
	s_barrier
	buffer_gl0_inv
	v_add_f64 v[46:47], v[6:7], v[46:47]
	v_fma_f64 v[6:7], v[76:77], -0.5, v[6:7]
	v_add_f64 v[38:39], v[8:9], v[38:39]
	v_add_f64 v[76:77], v[108:109], -v[106:107]
	v_add_f64 v[80:81], v[14:15], v[48:49]
	v_add_f64 v[102:103], v[14:15], -v[48:49]
	v_add_f64 v[14:15], v[10:11], v[14:15]
	v_add_f64 v[84:85], v[22:23], v[50:51]
	v_add_f64 v[110:111], v[22:23], -v[50:51]
	v_fma_f64 v[8:9], v[78:79], -0.5, v[8:9]
	v_add_f64 v[78:79], v[94:95], -v[20:21]
	v_add_f64 v[86:87], v[30:31], v[26:27]
	v_fma_f64 v[0:1], v[32:33], -0.5, v[0:1]
	v_add_f64 v[32:33], v[2:3], v[108:109]
	v_fma_f64 v[2:3], v[36:37], -0.5, v[2:3]
	;; [unrolled: 2-line block ×4, first 2 shown]
	v_add_f64 v[54:55], v[4:5], v[40:41]
	v_add_f64 v[112:113], v[30:31], -v[26:27]
	v_fma_f64 v[4:5], v[74:75], -0.5, v[4:5]
	v_and_b32_e32 v74, 0xffff, v82
	v_add_f64 v[22:23], v[12:13], v[22:23]
	v_add_f64 v[24:25], v[24:25], -v[56:57]
	v_add_f64 v[30:31], v[100:101], v[30:31]
	v_add_f64 v[82:83], v[88:89], v[104:105]
	v_mul_u32_u24_e32 v117, 0x25f8, v74
	v_add_f64 v[74:75], v[96:97], -v[104:105]
	v_add_f64 v[40:41], v[40:41], -v[42:43]
	v_lshlrev_b32_e32 v94, 3, v114
	v_add_f64 v[46:47], v[46:47], v[92:93]
	v_add_f64 v[34:35], v[38:39], v[34:35]
	v_fma_f64 v[10:11], v[80:81], -0.5, v[10:11]
	v_add_f64 v[38:39], v[14:15], v[48:49]
	v_fma_f64 v[12:13], v[84:85], -0.5, v[12:13]
	v_fma_f64 v[80:81], v[86:87], -0.5, v[100:101]
	v_fma_f64 v[84:85], v[90:91], s[4:5], v[0:1]
	v_fma_f64 v[0:1], v[90:91], s[10:11], v[0:1]
	v_add_f64 v[32:33], v[32:33], v[106:107]
	v_fma_f64 v[86:87], v[98:99], s[4:5], v[2:3]
	v_fma_f64 v[2:3], v[98:99], s[10:11], v[2:3]
	v_add_f64 v[20:21], v[36:37], v[20:21]
	;; [unrolled: 3-line block ×4, first 2 shown]
	v_fma_f64 v[54:55], v[112:113], s[4:5], v[4:5]
	v_fma_f64 v[4:5], v[112:113], s[10:11], v[4:5]
	;; [unrolled: 1-line block ×6, first 2 shown]
	v_add_f64 v[48:49], v[22:23], v[50:51]
	v_add3_u32 v101, 0, v115, v116
	v_add3_u32 v102, 0, v117, v94
	v_lshl_add_u32 v100, v64, 3, 0
	v_add_f64 v[50:51], v[30:31], v[26:27]
	ds_store_b64 v58, v[82:83]
	ds_store_b64 v58, v[84:85] offset:3240
	ds_store_b64 v58, v[0:1] offset:6480
	ds_store_b64 v101, v[32:33]
	ds_store_b64 v101, v[86:87] offset:3240
	ds_store_b64 v101, v[2:3] offset:6480
	;; [unrolled: 1-line block ×5, first 2 shown]
	ds_store_b64 v102, v[52:53]
	ds_store_b64 v102, v[56:57] offset:3240
	ds_store_b64 v102, v[18:19] offset:6480
	;; [unrolled: 1-line block ×5, first 2 shown]
	v_fma_f64 v[92:93], v[78:79], s[10:11], v[10:11]
	v_fma_f64 v[78:79], v[78:79], s[4:5], v[10:11]
	;; [unrolled: 1-line block ×4, first 2 shown]
	s_waitcnt lgkmcnt(0)
	s_barrier
	buffer_gl0_inv
	ds_load_2addr_b64 v[4:7], v58 offset1:243
	ds_load_2addr_b64 v[0:3], v66 offset0:12 offset1:255
	ds_load_2addr_b64 v[16:19], v65 offset0:6 offset1:249
	;; [unrolled: 1-line block ×6, first 2 shown]
	ds_load_b64 v[30:31], v58 offset:27216
	v_fma_f64 v[98:99], v[40:41], s[10:11], v[80:81]
	v_fma_f64 v[40:41], v[40:41], s[4:5], v[80:81]
	s_waitcnt lgkmcnt(0)
	s_barrier
	buffer_gl0_inv
	ds_store_b64 v58, v[46:47]
	ds_store_b64 v58, v[88:89] offset:3240
	ds_store_b64 v58, v[74:75] offset:6480
	ds_store_b64 v101, v[34:35]
	ds_store_b64 v101, v[90:91] offset:3240
	ds_store_b64 v101, v[76:77] offset:6480
	;; [unrolled: 1-line block ×5, first 2 shown]
	ds_store_b64 v102, v[48:49]
	ds_store_b64 v102, v[94:95] offset:3240
	ds_store_b64 v102, v[96:97] offset:6480
	;; [unrolled: 1-line block ×5, first 2 shown]
	s_waitcnt lgkmcnt(0)
	s_barrier
	buffer_gl0_inv
	s_and_saveexec_b32 s0, vcc_lo
	s_cbranch_execz .LBB0_15
; %bb.14:
	v_lshlrev_b32_e32 v28, 1, v73
	v_mad_u64_u32 v[110:111], null, s2, v62, 0
	v_mul_lo_u32 v63, s2, v63
	v_add_nc_u32_e32 v127, 0x3cc, v64
	s_delay_alu instid0(VALU_DEP_4)
	v_lshlrev_b64 v[36:37], 4, v[28:29]
	v_lshlrev_b32_e32 v28, 1, v72
	v_add_nc_u32_e32 v124, 0xf3, v64
	v_add_nc_u32_e32 v125, 0x1e6, v64
	;; [unrolled: 1-line block ×3, first 2 shown]
	v_lshlrev_b64 v[60:61], 4, v[60:61]
	v_lshlrev_b64 v[32:33], 4, v[28:29]
	v_lshlrev_b32_e32 v28, 1, v71
	s_delay_alu instid0(VALU_DEP_4) | instskip(NEXT) | instid1(VALU_DEP_2)
	v_mul_hi_u32 v113, 0x1af83441, v126
	v_lshlrev_b64 v[34:35], 4, v[28:29]
	v_lshlrev_b32_e32 v28, 1, v70
	v_add_co_u32 v40, vcc_lo, s8, v32
	v_add_co_ci_u32_e32 v41, vcc_lo, s9, v33, vcc_lo
	s_delay_alu instid0(VALU_DEP_3) | instskip(SKIP_4) | instid1(VALU_DEP_4)
	v_lshlrev_b64 v[38:39], 4, v[28:29]
	v_add_co_u32 v28, vcc_lo, s8, v34
	v_add_co_ci_u32_e32 v34, vcc_lo, s9, v35, vcc_lo
	v_add_co_u32 v48, vcc_lo, 0x4ba0, v40
	v_add_co_ci_u32_e32 v49, vcc_lo, 0, v41, vcc_lo
	v_add_co_u32 v56, vcc_lo, 0x4ba0, v28
	s_delay_alu instid0(VALU_DEP_4)
	v_add_co_ci_u32_e32 v57, vcc_lo, 0, v34, vcc_lo
	v_add_co_u32 v32, vcc_lo, 0x4000, v44
	v_add_co_ci_u32_e32 v33, vcc_lo, 0, v45, vcc_lo
	v_add_co_u32 v74, vcc_lo, 0x4000, v28
	v_add_co_ci_u32_e32 v75, vcc_lo, 0, v34, vcc_lo
	global_load_b128 v[32:35], v[32:33], off offset:2976
	v_add_co_u32 v28, vcc_lo, s8, v38
	v_add_co_ci_u32_e32 v80, vcc_lo, s9, v39, vcc_lo
	v_add_co_u32 v38, vcc_lo, s8, v36
	v_add_co_ci_u32_e32 v39, vcc_lo, s9, v37, vcc_lo
	;; [unrolled: 2-line block ×3, first 2 shown]
	s_delay_alu instid0(VALU_DEP_4) | instskip(NEXT) | instid1(VALU_DEP_4)
	v_add_co_u32 v40, vcc_lo, 0x4000, v38
	v_add_co_ci_u32_e32 v41, vcc_lo, 0, v39, vcc_lo
	v_add_co_u32 v36, vcc_lo, 0x4ba0, v44
	v_add_co_ci_u32_e32 v37, vcc_lo, 0, v45, vcc_lo
	;; [unrolled: 2-line block ×3, first 2 shown]
	global_load_b128 v[36:39], v[36:37], off offset:16
	v_add_co_u32 v78, vcc_lo, 0x4000, v28
	v_add_co_ci_u32_e32 v79, vcc_lo, 0, v80, vcc_lo
	s_clause 0x5
	global_load_b128 v[40:43], v[40:41], off offset:2976
	global_load_b128 v[44:47], v[44:45], off offset:16
	;; [unrolled: 1-line block ×6, first 2 shown]
	v_add_co_u32 v56, vcc_lo, 0x4ba0, v28
	v_add_co_ci_u32_e32 v57, vcc_lo, 0, v80, vcc_lo
	s_clause 0x1
	global_load_b128 v[78:81], v[78:79], off offset:2976
	global_load_b128 v[82:85], v[56:57], off offset:16
	ds_load_2addr_b64 v[86:89], v66 offset0:12 offset1:255
	ds_load_2addr_b64 v[90:93], v69 offset0:4 offset1:247
	;; [unrolled: 1-line block ×4, first 2 shown]
	ds_load_b64 v[106:107], v58 offset:27216
	ds_load_2addr_b64 v[98:101], v65 offset0:6 offset1:249
	v_mul_lo_u32 v28, s3, v62
	v_mul_hi_u32 v62, 0x1af83441, v64
	v_mul_hi_u32 v65, 0x1af83441, v124
	v_lshrrev_b32_e32 v130, 7, v113
	ds_load_2addr_b64 v[102:105], v59 offset0:6 offset1:249
	ds_load_2addr_b64 v[56:59], v58 offset1:243
	v_add3_u32 v111, v111, v63, v28
	v_lshrrev_b32_e32 v114, 7, v62
	v_mov_b32_e32 v62, v29
	v_mul_hi_u32 v112, 0x1af83441, v125
	v_lshrrev_b32_e32 v128, 7, v65
	v_lshlrev_b64 v[110:111], 4, v[110:111]
	v_mul_u32_u24_e32 v63, 0x4bf, v114
	s_delay_alu instid0(VALU_DEP_3) | instskip(SKIP_1) | instid1(VALU_DEP_2)
	v_mul_u32_u24_e32 v132, 0x4bf, v128
	v_lshrrev_b32_e32 v129, 7, v112
	v_sub_nc_u32_e32 v124, v124, v132
	s_waitcnt vmcnt(9) lgkmcnt(7)
	v_mul_f64 v[108:109], v[34:35], v[88:89]
	v_mul_f64 v[88:89], v[32:33], v[88:89]
	s_waitcnt vmcnt(7) lgkmcnt(4)
	v_mul_f64 v[112:113], v[40:41], v[68:69]
	s_waitcnt vmcnt(6) lgkmcnt(3)
	v_mul_f64 v[114:115], v[44:45], v[106:107]
	s_waitcnt vmcnt(5)
	v_mul_f64 v[116:117], v[50:51], v[92:93]
	v_mul_f64 v[92:93], v[48:49], v[92:93]
	s_waitcnt vmcnt(4)
	v_mul_f64 v[118:119], v[54:55], v[66:67]
	;; [unrolled: 3-line block ×4, first 2 shown]
	v_mul_f64 v[68:69], v[42:43], v[68:69]
	v_mul_f64 v[106:107], v[46:47], v[106:107]
	v_mul_u32_u24_e32 v67, 0x4bf, v129
	v_fma_f64 v[32:33], v[2:3], v[32:33], -v[108:109]
	v_mov_b32_e32 v108, v29
	v_mul_hi_u32 v28, 0x1af83441, v127
	v_fma_f64 v[2:3], v[2:3], v[34:35], v[88:89]
	v_mul_f64 v[34:35], v[74:75], v[96:97]
	s_waitcnt vmcnt(1)
	v_mul_f64 v[88:89], v[80:81], v[94:95]
	v_mul_f64 v[94:95], v[78:79], v[94:95]
	s_waitcnt vmcnt(0) lgkmcnt(2)
	v_mul_f64 v[96:97], v[82:83], v[100:101]
	v_mul_f64 v[100:101], v[84:85], v[100:101]
	v_add_co_u32 v109, vcc_lo, s6, v110
	v_lshrrev_b32_e32 v131, 7, v28
	v_sub_nc_u32_e32 v28, v64, v63
	v_mul_f64 v[63:64], v[36:37], v[98:99]
	v_mul_f64 v[98:99], v[38:39], v[98:99]
	v_add_co_ci_u32_e32 v110, vcc_lo, s7, v111, vcc_lo
	v_mul_u32_u24_e32 v111, 0x4bf, v130
	v_sub_nc_u32_e32 v132, v125, v67
	v_lshlrev_b32_e32 v125, 4, v28
	v_add_co_u32 v134, vcc_lo, v109, v60
	s_delay_alu instid0(VALU_DEP_4) | instskip(SKIP_4) | instid1(VALU_DEP_4)
	v_sub_nc_u32_e32 v126, v126, v111
	v_mul_u32_u24_e32 v111, 0x4bf, v131
	v_add_co_ci_u32_e32 v135, vcc_lo, v110, v61, vcc_lo
	v_mad_u32_u24 v28, 0xe3d, v128, v124
	v_add_co_u32 v110, vcc_lo, v134, v125
	v_sub_nc_u32_e32 v133, v127, v111
	s_delay_alu instid0(VALU_DEP_4) | instskip(NEXT) | instid1(VALU_DEP_4)
	v_add_co_ci_u32_e32 v111, vcc_lo, 0, v135, vcc_lo
	v_add_nc_u32_e32 v61, 0x4bf, v28
	v_lshlrev_b64 v[124:125], 4, v[28:29]
	v_dual_mov_b32 v67, v29 :: v_dual_add_nc_u32 v28, 0x97e, v28
	v_mov_b32_e32 v109, v29
	v_fma_f64 v[38:39], v[16:17], v[38:39], v[63:64]
	v_fma_f64 v[16:17], v[16:17], v[36:37], -v[98:99]
	v_fma_f64 v[36:37], v[14:15], v[42:43], v[112:113]
	v_fma_f64 v[42:43], v[30:31], v[46:47], v[114:115]
	v_fma_f64 v[46:47], v[26:27], v[48:49], -v[116:117]
	v_fma_f64 v[26:27], v[26:27], v[50:51], v[92:93]
	v_fma_f64 v[48:49], v[12:13], v[52:53], -v[118:119]
	;; [unrolled: 2-line block ×5, first 2 shown]
	v_fma_f64 v[20:21], v[20:21], v[80:81], v[94:95]
	v_fma_f64 v[54:55], v[18:19], v[84:85], v[96:97]
	v_fma_f64 v[63:64], v[18:19], v[82:83], -v[100:101]
	v_fma_f64 v[14:15], v[14:15], v[40:41], -v[68:69]
	;; [unrolled: 1-line block ×3, first 2 shown]
	v_add_co_u32 v70, vcc_lo, 0x4000, v110
	v_add_co_ci_u32_e32 v71, vcc_lo, 0, v111, vcc_lo
	v_add_co_u32 v72, vcc_lo, 0x9000, v110
	v_lshlrev_b64 v[30:31], 4, v[61:62]
	v_lshlrev_b64 v[40:41], 4, v[28:29]
	v_mad_u32_u24 v28, 0xe3d, v129, v132
	v_add_co_ci_u32_e32 v73, vcc_lo, 0, v111, vcc_lo
	v_add_co_u32 v68, vcc_lo, v134, v124
	v_add_co_ci_u32_e32 v69, vcc_lo, v135, v125, vcc_lo
	s_delay_alu instid0(VALU_DEP_4)
	v_add_nc_u32_e32 v66, 0x4bf, v28
	v_add_co_u32 v74, vcc_lo, v134, v30
	v_add_co_ci_u32_e32 v75, vcc_lo, v135, v31, vcc_lo
	v_add_co_u32 v76, vcc_lo, v134, v40
	v_add_co_ci_u32_e32 v77, vcc_lo, v135, v41, vcc_lo
	v_lshlrev_b64 v[30:31], 4, v[66:67]
	v_add_f64 v[40:41], v[2:3], v[38:39]
	v_add_f64 v[65:66], v[32:33], v[16:17]
	;; [unrolled: 1-line block ×7, first 2 shown]
	v_lshlrev_b64 v[44:45], 4, v[28:29]
	v_add_nc_u32_e32 v28, 0x97e, v28
	v_add_f64 v[84:85], v[20:21], v[54:55]
	v_add_f64 v[90:91], v[34:35], v[63:64]
	;; [unrolled: 1-line block ×4, first 2 shown]
	v_add_co_u32 v94, vcc_lo, v134, v44
	v_add_co_ci_u32_e32 v95, vcc_lo, v135, v45, vcc_lo
	v_add_co_u32 v98, vcc_lo, v134, v30
	v_add_co_ci_u32_e32 v99, vcc_lo, v135, v31, vcc_lo
	s_waitcnt lgkmcnt(0)
	v_add_f64 v[30:31], v[2:3], v[56:57]
	v_add_f64 v[32:33], v[32:33], -v[16:17]
	v_add_f64 v[112:113], v[2:3], -v[38:39]
	v_add_f64 v[116:117], v[0:1], v[14:15]
	v_add_f64 v[118:119], v[14:15], -v[18:19]
	v_add_f64 v[14:15], v[12:13], v[104:105]
	;; [unrolled: 2-line block ×3, first 2 shown]
	v_lshlrev_b64 v[60:61], 4, v[28:29]
	v_mad_u32_u24 v28, 0xe3d, v130, v126
	v_add_f64 v[126:127], v[20:21], v[58:59]
	v_add_f64 v[128:129], v[6:7], v[34:35]
	;; [unrolled: 1-line block ×3, first 2 shown]
	v_add_f64 v[122:123], v[48:49], -v[46:47]
	v_add_f64 v[48:49], v[8:9], v[52:53]
	v_add_f64 v[34:35], v[34:35], -v[63:64]
	v_add_f64 v[114:115], v[36:37], v[86:87]
	v_fma_f64 v[40:41], v[40:41], -0.5, v[56:57]
	v_fma_f64 v[56:57], v[65:66], -0.5, v[4:5]
	;; [unrolled: 1-line block ×4, first 2 shown]
	v_add_f64 v[52:53], v[52:53], -v[50:51]
	v_add_f64 v[86:87], v[22:23], -v[24:25]
	v_fma_f64 v[80:81], v[82:83], -0.5, v[102:103]
	v_add_f64 v[82:83], v[20:21], -v[54:55]
	v_fma_f64 v[88:89], v[88:89], -0.5, v[10:11]
	v_fma_f64 v[58:59], v[84:85], -0.5, v[58:59]
	;; [unrolled: 1-line block ×4, first 2 shown]
	v_add_f64 v[102:103], v[36:37], -v[42:43]
	v_fma_f64 v[96:97], v[96:97], -0.5, v[0:1]
	v_lshlrev_b64 v[44:45], 4, v[28:29]
	v_add_nc_u32_e32 v107, 0x4bf, v28
	v_add_nc_u32_e32 v28, 0x97e, v28
	v_add_co_u32 v92, vcc_lo, v134, v60
	v_add_f64 v[0:1], v[100:101], v[16:17]
	v_add_co_ci_u32_e32 v93, vcc_lo, v135, v61, vcc_lo
	v_add_f64 v[2:3], v[38:39], v[30:31]
	v_add_co_u32 v130, vcc_lo, v134, v44
	v_add_f64 v[4:5], v[116:117], v[18:19]
	v_add_f64 v[10:11], v[26:27], v[14:15]
	v_lshlrev_b64 v[104:105], 4, v[107:108]
	v_add_f64 v[14:15], v[24:25], v[12:13]
	v_lshlrev_b64 v[106:107], 4, v[28:29]
	v_mad_u32_u24 v28, 0xe3d, v131, v133
	v_add_f64 v[18:19], v[54:55], v[126:127]
	v_add_f64 v[16:17], v[128:129], v[63:64]
	;; [unrolled: 1-line block ×3, first 2 shown]
	v_add_co_ci_u32_e32 v131, vcc_lo, v135, v45, vcc_lo
	v_add_f64 v[12:13], v[48:49], v[50:51]
	v_add_f64 v[6:7], v[42:43], v[114:115]
	v_fma_f64 v[26:27], v[32:33], s[10:11], v[40:41]
	v_fma_f64 v[24:25], v[112:113], s[4:5], v[56:57]
	;; [unrolled: 1-line block ×20, first 2 shown]
	v_add_nc_u32_e32 v108, 0x4bf, v28
	v_lshlrev_b64 v[132:133], 4, v[28:29]
	v_add_co_u32 v62, vcc_lo, v134, v104
	v_add_nc_u32_e32 v28, 0x97e, v28
	v_add_co_ci_u32_e32 v63, vcc_lo, v135, v105, vcc_lo
	v_add_co_u32 v64, vcc_lo, v134, v106
	v_lshlrev_b64 v[66:67], 4, v[108:109]
	v_add_co_ci_u32_e32 v65, vcc_lo, v135, v107, vcc_lo
	v_lshlrev_b64 v[28:29], 4, v[28:29]
	v_add_co_u32 v78, vcc_lo, v134, v132
	v_add_co_ci_u32_e32 v79, vcc_lo, v135, v133, vcc_lo
	v_add_co_u32 v66, vcc_lo, v134, v66
	v_add_co_ci_u32_e32 v67, vcc_lo, v135, v67, vcc_lo
	;; [unrolled: 2-line block ×3, first 2 shown]
	s_clause 0xe
	global_store_b128 v[110:111], v[0:3], off
	global_store_b128 v[70:71], v[24:27], off offset:3056
	global_store_b128 v[72:73], v[20:23], off offset:2016
	global_store_b128 v[68:69], v[16:19], off
	global_store_b128 v[74:75], v[46:49], off
	;; [unrolled: 1-line block ×12, first 2 shown]
.LBB0_15:
	s_nop 0
	s_sendmsg sendmsg(MSG_DEALLOC_VGPRS)
	s_endpgm
	.section	.rodata,"a",@progbits
	.p2align	6, 0x0
	.amdhsa_kernel fft_rtc_fwd_len3645_factors_5_3_3_3_3_3_3_wgs_243_tpt_243_halfLds_dp_op_CI_CI_unitstride_sbrr_dirReg
		.amdhsa_group_segment_fixed_size 0
		.amdhsa_private_segment_fixed_size 0
		.amdhsa_kernarg_size 104
		.amdhsa_user_sgpr_count 15
		.amdhsa_user_sgpr_dispatch_ptr 0
		.amdhsa_user_sgpr_queue_ptr 0
		.amdhsa_user_sgpr_kernarg_segment_ptr 1
		.amdhsa_user_sgpr_dispatch_id 0
		.amdhsa_user_sgpr_private_segment_size 0
		.amdhsa_wavefront_size32 1
		.amdhsa_uses_dynamic_stack 0
		.amdhsa_enable_private_segment 0
		.amdhsa_system_sgpr_workgroup_id_x 1
		.amdhsa_system_sgpr_workgroup_id_y 0
		.amdhsa_system_sgpr_workgroup_id_z 0
		.amdhsa_system_sgpr_workgroup_info 0
		.amdhsa_system_vgpr_workitem_id 0
		.amdhsa_next_free_vgpr 136
		.amdhsa_next_free_sgpr 27
		.amdhsa_reserve_vcc 1
		.amdhsa_float_round_mode_32 0
		.amdhsa_float_round_mode_16_64 0
		.amdhsa_float_denorm_mode_32 3
		.amdhsa_float_denorm_mode_16_64 3
		.amdhsa_dx10_clamp 1
		.amdhsa_ieee_mode 1
		.amdhsa_fp16_overflow 0
		.amdhsa_workgroup_processor_mode 1
		.amdhsa_memory_ordered 1
		.amdhsa_forward_progress 0
		.amdhsa_shared_vgpr_count 0
		.amdhsa_exception_fp_ieee_invalid_op 0
		.amdhsa_exception_fp_denorm_src 0
		.amdhsa_exception_fp_ieee_div_zero 0
		.amdhsa_exception_fp_ieee_overflow 0
		.amdhsa_exception_fp_ieee_underflow 0
		.amdhsa_exception_fp_ieee_inexact 0
		.amdhsa_exception_int_div_zero 0
	.end_amdhsa_kernel
	.text
.Lfunc_end0:
	.size	fft_rtc_fwd_len3645_factors_5_3_3_3_3_3_3_wgs_243_tpt_243_halfLds_dp_op_CI_CI_unitstride_sbrr_dirReg, .Lfunc_end0-fft_rtc_fwd_len3645_factors_5_3_3_3_3_3_3_wgs_243_tpt_243_halfLds_dp_op_CI_CI_unitstride_sbrr_dirReg
                                        ; -- End function
	.section	.AMDGPU.csdata,"",@progbits
; Kernel info:
; codeLenInByte = 15020
; NumSgprs: 29
; NumVgprs: 136
; ScratchSize: 0
; MemoryBound: 1
; FloatMode: 240
; IeeeMode: 1
; LDSByteSize: 0 bytes/workgroup (compile time only)
; SGPRBlocks: 3
; VGPRBlocks: 16
; NumSGPRsForWavesPerEU: 29
; NumVGPRsForWavesPerEU: 136
; Occupancy: 10
; WaveLimiterHint : 1
; COMPUTE_PGM_RSRC2:SCRATCH_EN: 0
; COMPUTE_PGM_RSRC2:USER_SGPR: 15
; COMPUTE_PGM_RSRC2:TRAP_HANDLER: 0
; COMPUTE_PGM_RSRC2:TGID_X_EN: 1
; COMPUTE_PGM_RSRC2:TGID_Y_EN: 0
; COMPUTE_PGM_RSRC2:TGID_Z_EN: 0
; COMPUTE_PGM_RSRC2:TIDIG_COMP_CNT: 0
	.text
	.p2alignl 7, 3214868480
	.fill 96, 4, 3214868480
	.type	__hip_cuid_19218ddc259eed74,@object ; @__hip_cuid_19218ddc259eed74
	.section	.bss,"aw",@nobits
	.globl	__hip_cuid_19218ddc259eed74
__hip_cuid_19218ddc259eed74:
	.byte	0                               ; 0x0
	.size	__hip_cuid_19218ddc259eed74, 1

	.ident	"AMD clang version 19.0.0git (https://github.com/RadeonOpenCompute/llvm-project roc-6.4.0 25133 c7fe45cf4b819c5991fe208aaa96edf142730f1d)"
	.section	".note.GNU-stack","",@progbits
	.addrsig
	.addrsig_sym __hip_cuid_19218ddc259eed74
	.amdgpu_metadata
---
amdhsa.kernels:
  - .args:
      - .actual_access:  read_only
        .address_space:  global
        .offset:         0
        .size:           8
        .value_kind:     global_buffer
      - .offset:         8
        .size:           8
        .value_kind:     by_value
      - .actual_access:  read_only
        .address_space:  global
        .offset:         16
        .size:           8
        .value_kind:     global_buffer
      - .actual_access:  read_only
        .address_space:  global
        .offset:         24
        .size:           8
        .value_kind:     global_buffer
      - .actual_access:  read_only
        .address_space:  global
        .offset:         32
        .size:           8
        .value_kind:     global_buffer
      - .offset:         40
        .size:           8
        .value_kind:     by_value
      - .actual_access:  read_only
        .address_space:  global
        .offset:         48
        .size:           8
        .value_kind:     global_buffer
      - .actual_access:  read_only
        .address_space:  global
        .offset:         56
        .size:           8
        .value_kind:     global_buffer
      - .offset:         64
        .size:           4
        .value_kind:     by_value
      - .actual_access:  read_only
        .address_space:  global
        .offset:         72
        .size:           8
        .value_kind:     global_buffer
      - .actual_access:  read_only
        .address_space:  global
        .offset:         80
        .size:           8
        .value_kind:     global_buffer
      - .actual_access:  read_only
        .address_space:  global
        .offset:         88
        .size:           8
        .value_kind:     global_buffer
      - .actual_access:  write_only
        .address_space:  global
        .offset:         96
        .size:           8
        .value_kind:     global_buffer
    .group_segment_fixed_size: 0
    .kernarg_segment_align: 8
    .kernarg_segment_size: 104
    .language:       OpenCL C
    .language_version:
      - 2
      - 0
    .max_flat_workgroup_size: 243
    .name:           fft_rtc_fwd_len3645_factors_5_3_3_3_3_3_3_wgs_243_tpt_243_halfLds_dp_op_CI_CI_unitstride_sbrr_dirReg
    .private_segment_fixed_size: 0
    .sgpr_count:     29
    .sgpr_spill_count: 0
    .symbol:         fft_rtc_fwd_len3645_factors_5_3_3_3_3_3_3_wgs_243_tpt_243_halfLds_dp_op_CI_CI_unitstride_sbrr_dirReg.kd
    .uniform_work_group_size: 1
    .uses_dynamic_stack: false
    .vgpr_count:     136
    .vgpr_spill_count: 0
    .wavefront_size: 32
    .workgroup_processor_mode: 1
amdhsa.target:   amdgcn-amd-amdhsa--gfx1100
amdhsa.version:
  - 1
  - 2
...

	.end_amdgpu_metadata
